;; amdgpu-corpus repo=ROCm/rocFFT kind=compiled arch=gfx1030 opt=O3
	.text
	.amdgcn_target "amdgcn-amd-amdhsa--gfx1030"
	.amdhsa_code_object_version 6
	.protected	bluestein_single_fwd_len2560_dim1_half_op_CI_CI ; -- Begin function bluestein_single_fwd_len2560_dim1_half_op_CI_CI
	.globl	bluestein_single_fwd_len2560_dim1_half_op_CI_CI
	.p2align	8
	.type	bluestein_single_fwd_len2560_dim1_half_op_CI_CI,@function
bluestein_single_fwd_len2560_dim1_half_op_CI_CI: ; @bluestein_single_fwd_len2560_dim1_half_op_CI_CI
; %bb.0:
	s_load_dwordx4 s[12:15], s[4:5], 0x28
	s_mov_b32 s7, 0
	s_mov_b32 s1, exec_lo
	s_waitcnt lgkmcnt(0)
	v_cmpx_lt_u64_e64 s[6:7], s[12:13]
	s_cbranch_execz .LBB0_2
; %bb.1:
	s_clause 0x1
	s_load_dwordx4 s[8:11], s[4:5], 0x18
	s_load_dwordx4 s[0:3], s[4:5], 0x0
	v_mov_b32_e32 v31, s7
	v_mov_b32_e32 v30, s6
	v_lshlrev_b32_e32 v48, 2, v0
	v_lshlrev_b32_e32 v43, 4, v0
	s_load_dwordx2 s[4:5], s[4:5], 0x38
	v_or_b32_e32 v31, 0xa00, v48
	v_or_b32_e32 v39, 0x1400, v48
	;; [unrolled: 1-line block ×11, first 2 shown]
	s_waitcnt lgkmcnt(0)
	s_load_dwordx4 s[16:19], s[8:9], 0x0
	s_add_u32 s6, s0, 0x2800
	s_addc_u32 s7, s1, 0
	s_clause 0x4
	global_load_dword v64, v31, s[0:1]
	global_load_dword v63, v39, s[0:1]
	;; [unrolled: 1-line block ×4, first 2 shown]
	global_load_dword v61, v48, s[0:1] offset:512
	v_or_b32_e32 v42, 0x2400, v48
	v_or_b32_e32 v44, 0x800, v48
	;; [unrolled: 1-line block ×5, first 2 shown]
	s_waitcnt lgkmcnt(0)
	v_mad_u64_u32 v[1:2], null, s18, v30, 0
	v_mad_u64_u32 v[3:4], null, s16, v0, 0
	s_mul_i32 s8, s17, 0xa00
	s_mul_hi_u32 s9, s16, 0xa00
	s_mul_i32 s12, s16, 0xa00
	s_add_i32 s9, s9, s8
	s_mul_hi_u32 s8, s16, 0xffffe400
	s_mul_i32 s13, s17, 0xffffe400
	v_mad_u64_u32 v[5:6], null, s19, v30, v[2:3]
	s_sub_i32 s8, s8, s16
	s_add_i32 s8, s8, s13
	v_mad_u64_u32 v[6:7], null, s17, v0, v[4:5]
	v_mov_b32_e32 v2, v5
	v_lshlrev_b64 v[1:2], 2, v[1:2]
	v_mov_b32_e32 v4, v6
	v_add_co_u32 v1, vcc_lo, s14, v1
	v_lshlrev_b64 v[3:4], 2, v[3:4]
	v_add_co_ci_u32_e32 v2, vcc_lo, s15, v2, vcc_lo
	s_mul_i32 s14, s16, 0xffffe400
	v_add_co_u32 v1, vcc_lo, v1, v3
	v_add_co_ci_u32_e32 v2, vcc_lo, v2, v4, vcc_lo
	v_add_co_u32 v3, vcc_lo, v1, s12
	v_add_co_ci_u32_e32 v4, vcc_lo, s9, v2, vcc_lo
	s_clause 0x1
	global_load_dword v5, v[1:2], off
	global_load_dword v6, v[3:4], off
	v_add_co_u32 v1, vcc_lo, v3, s12
	v_add_co_ci_u32_e32 v2, vcc_lo, s9, v4, vcc_lo
	global_load_dword v7, v[1:2], off
	v_add_co_u32 v1, vcc_lo, v1, s12
	v_add_co_ci_u32_e32 v2, vcc_lo, s9, v2, vcc_lo
	v_add_co_u32 v3, vcc_lo, v1, s14
	v_add_co_ci_u32_e32 v4, vcc_lo, s8, v2, vcc_lo
	s_clause 0x1
	global_load_dword v8, v[1:2], off
	global_load_dword v9, v[3:4], off
	v_add_co_u32 v1, vcc_lo, v3, s12
	v_add_co_ci_u32_e32 v2, vcc_lo, s9, v4, vcc_lo
	v_add_co_u32 v3, vcc_lo, v1, s12
	v_add_co_ci_u32_e32 v4, vcc_lo, s9, v2, vcc_lo
	global_load_dword v10, v[1:2], off
	global_load_dword v60, v37, s[0:1]
	global_load_dword v11, v[3:4], off
	v_add_co_u32 v1, vcc_lo, v3, s12
	v_add_co_ci_u32_e32 v2, vcc_lo, s9, v4, vcc_lo
	global_load_dword v59, v38, s[0:1]
	v_add_co_u32 v3, vcc_lo, v1, s14
	v_add_co_ci_u32_e32 v4, vcc_lo, s8, v2, vcc_lo
	global_load_dword v12, v[1:2], off
	s_clause 0x1
	global_load_dword v58, v33, s[0:1]
	global_load_dword v57, v48, s[0:1] offset:1024
	global_load_dword v13, v[3:4], off
	v_add_co_u32 v1, vcc_lo, v3, s12
	v_add_co_ci_u32_e32 v2, vcc_lo, s9, v4, vcc_lo
	global_load_dword v56, v40, s[0:1]
	v_add_co_u32 v3, vcc_lo, v1, s12
	v_add_co_ci_u32_e32 v4, vcc_lo, s9, v2, vcc_lo
	global_load_dword v14, v[1:2], off
	v_add_co_u32 v1, vcc_lo, v3, s12
	v_add_co_ci_u32_e32 v2, vcc_lo, s9, v4, vcc_lo
	global_load_dword v15, v[3:4], off
	s_clause 0x1
	global_load_dword v55, v34, s[0:1]
	global_load_dword v54, v35, s[0:1]
	global_load_dword v16, v[1:2], off
	v_add_co_u32 v1, vcc_lo, v1, s14
	v_add_co_ci_u32_e32 v2, vcc_lo, s8, v2, vcc_lo
	global_load_dword v53, v48, s[0:1] offset:1536
	v_add_co_u32 v3, vcc_lo, v1, s12
	v_add_co_ci_u32_e32 v4, vcc_lo, s9, v2, vcc_lo
	global_load_dword v17, v[1:2], off
	v_add_co_u32 v1, vcc_lo, v3, s12
	v_add_co_ci_u32_e32 v2, vcc_lo, s9, v4, vcc_lo
	global_load_dword v52, v36, s[0:1]
	global_load_dword v18, v[3:4], off
	s_clause 0x1
	global_load_dword v51, v41, s[0:1]
	global_load_dword v50, v42, s[0:1]
	global_load_dword v19, v[1:2], off
	v_add_co_u32 v1, vcc_lo, v1, s12
	v_add_co_ci_u32_e32 v2, vcc_lo, s9, v2, vcc_lo
	s_clause 0x1
	global_load_dword v49, v44, s[0:1]
	global_load_dword v47, v74, s[0:1]
	v_add_co_u32 v3, vcc_lo, v1, s14
	v_add_co_ci_u32_e32 v4, vcc_lo, s8, v2, vcc_lo
	global_load_dword v20, v[1:2], off
	v_add_co_u32 v1, vcc_lo, v3, s12
	v_add_co_ci_u32_e32 v2, vcc_lo, s9, v4, vcc_lo
	global_load_dword v21, v[3:4], off
	;; [unrolled: 3-line block ×4, first 2 shown]
	global_load_dword v1, v[1:2], off
	s_clause 0x1
	global_load_dword v46, v76, s[0:1]
	global_load_dword v45, v75, s[0:1]
	s_load_dwordx4 s[8:11], s[10:11], 0x0
	s_waitcnt vmcnt(34)
	v_lshrrev_b32_e32 v2, 16, v5
	v_mul_f16_sdwa v4, v65, v5 dst_sel:DWORD dst_unused:UNUSED_PAD src0_sel:WORD_1 src1_sel:DWORD
	s_waitcnt vmcnt(33)
	v_lshrrev_b32_e32 v24, 16, v6
	v_mul_f16_sdwa v25, v64, v6 dst_sel:DWORD dst_unused:UNUSED_PAD src0_sel:WORD_1 src1_sel:DWORD
	v_mul_f16_sdwa v23, v65, v2 dst_sel:DWORD dst_unused:UNUSED_PAD src0_sel:WORD_1 src1_sel:DWORD
	v_fma_f16 v2, v65, v2, -v4
	v_mul_f16_sdwa v4, v64, v24 dst_sel:DWORD dst_unused:UNUSED_PAD src0_sel:WORD_1 src1_sel:DWORD
	v_fma_f16 v24, v64, v24, -v25
	v_fmac_f16_e32 v23, v65, v5
	s_waitcnt vmcnt(32)
	v_lshrrev_b32_e32 v5, 16, v7
	v_mul_f16_sdwa v25, v63, v7 dst_sel:DWORD dst_unused:UNUSED_PAD src0_sel:WORD_1 src1_sel:DWORD
	v_fmac_f16_e32 v4, v64, v6
	v_pack_b32_f16 v2, v23, v2
	v_mul_f16_sdwa v6, v63, v5 dst_sel:DWORD dst_unused:UNUSED_PAD src0_sel:WORD_1 src1_sel:DWORD
	v_fma_f16 v5, v63, v5, -v25
	v_pack_b32_f16 v4, v4, v24
	s_waitcnt vmcnt(31)
	v_lshrrev_b32_e32 v23, 16, v8
	v_mul_f16_sdwa v25, v62, v8 dst_sel:DWORD dst_unused:UNUSED_PAD src0_sel:WORD_1 src1_sel:DWORD
	v_fmac_f16_e32 v6, v63, v7
	s_waitcnt vmcnt(30)
	v_lshrrev_b32_e32 v24, 16, v9
	v_mul_f16_sdwa v7, v62, v23 dst_sel:DWORD dst_unused:UNUSED_PAD src0_sel:WORD_1 src1_sel:DWORD
	v_fma_f16 v23, v62, v23, -v25
	v_mul_f16_sdwa v25, v61, v9 dst_sel:DWORD dst_unused:UNUSED_PAD src0_sel:WORD_1 src1_sel:DWORD
	v_pack_b32_f16 v5, v6, v5
	v_mul_f16_sdwa v6, v61, v24 dst_sel:DWORD dst_unused:UNUSED_PAD src0_sel:WORD_1 src1_sel:DWORD
	v_fmac_f16_e32 v7, v62, v8
	s_waitcnt vmcnt(29)
	v_lshrrev_b32_e32 v8, 16, v10
	v_fma_f16 v24, v61, v24, -v25
	s_waitcnt vmcnt(28)
	v_mul_f16_sdwa v25, v60, v10 dst_sel:DWORD dst_unused:UNUSED_PAD src0_sel:WORD_1 src1_sel:DWORD
	v_pack_b32_f16 v7, v7, v23
	v_fmac_f16_e32 v6, v61, v9
	v_mul_f16_sdwa v9, v60, v8 dst_sel:DWORD dst_unused:UNUSED_PAD src0_sel:WORD_1 src1_sel:DWORD
	s_waitcnt vmcnt(27)
	v_lshrrev_b32_e32 v23, 16, v11
	s_waitcnt vmcnt(26)
	v_mul_f16_sdwa v26, v59, v11 dst_sel:DWORD dst_unused:UNUSED_PAD src0_sel:WORD_1 src1_sel:DWORD
	v_fma_f16 v8, v60, v8, -v25
	v_pack_b32_f16 v6, v6, v24
	v_fmac_f16_e32 v9, v60, v10
	v_mul_f16_sdwa v10, v59, v23 dst_sel:DWORD dst_unused:UNUSED_PAD src0_sel:WORD_1 src1_sel:DWORD
	s_waitcnt vmcnt(25)
	v_lshrrev_b32_e32 v24, 16, v12
	v_fma_f16 v23, v59, v23, -v26
	s_waitcnt vmcnt(24)
	v_mul_f16_sdwa v25, v58, v12 dst_sel:DWORD dst_unused:UNUSED_PAD src0_sel:WORD_1 src1_sel:DWORD
	ds_write2st64_b32 v48, v2, v6 offset1:2
	v_pack_b32_f16 v2, v9, v8
	v_fmac_f16_e32 v10, v59, v11
	v_mul_f16_sdwa v6, v58, v24 dst_sel:DWORD dst_unused:UNUSED_PAD src0_sel:WORD_1 src1_sel:DWORD
	s_waitcnt vmcnt(22)
	v_lshrrev_b32_e32 v8, 16, v13
	v_mul_f16_sdwa v9, v57, v13 dst_sel:DWORD dst_unused:UNUSED_PAD src0_sel:WORD_1 src1_sel:DWORD
	v_fma_f16 v11, v58, v24, -v25
	v_pack_b32_f16 v10, v10, v23
	v_fmac_f16_e32 v6, v58, v12
	v_mul_f16_sdwa v12, v57, v8 dst_sel:DWORD dst_unused:UNUSED_PAD src0_sel:WORD_1 src1_sel:DWORD
	v_fma_f16 v8, v57, v8, -v9
	s_waitcnt vmcnt(20)
	v_lshrrev_b32_e32 v9, 16, v14
	v_mul_f16_sdwa v23, v56, v14 dst_sel:DWORD dst_unused:UNUSED_PAD src0_sel:WORD_1 src1_sel:DWORD
	ds_write2st64_b32 v48, v5, v10 offset0:20 offset1:22
	v_pack_b32_f16 v5, v6, v11
	v_fmac_f16_e32 v12, v57, v13
	v_mul_f16_sdwa v6, v56, v9 dst_sel:DWORD dst_unused:UNUSED_PAD src0_sel:WORD_1 src1_sel:DWORD
	s_waitcnt vmcnt(19)
	v_lshrrev_b32_e32 v10, 16, v15
	v_fma_f16 v9, v56, v9, -v23
	s_waitcnt vmcnt(18)
	v_mul_f16_sdwa v11, v55, v15 dst_sel:DWORD dst_unused:UNUSED_PAD src0_sel:WORD_1 src1_sel:DWORD
	v_pack_b32_f16 v8, v12, v8
	v_fmac_f16_e32 v6, v56, v14
	v_mul_f16_sdwa v12, v55, v10 dst_sel:DWORD dst_unused:UNUSED_PAD src0_sel:WORD_1 src1_sel:DWORD
	s_waitcnt vmcnt(16)
	v_lshrrev_b32_e32 v13, 16, v16
	v_mul_f16_sdwa v14, v54, v16 dst_sel:DWORD dst_unused:UNUSED_PAD src0_sel:WORD_1 src1_sel:DWORD
	v_fma_f16 v10, v55, v10, -v11
	v_pack_b32_f16 v6, v6, v9
	v_fmac_f16_e32 v12, v55, v15
	v_mul_f16_sdwa v9, v54, v13 dst_sel:DWORD dst_unused:UNUSED_PAD src0_sel:WORD_1 src1_sel:DWORD
	v_fma_f16 v11, v54, v13, -v14
	s_waitcnt vmcnt(14)
	v_lshrrev_b32_e32 v13, 16, v17
	v_mul_f16_sdwa v14, v53, v17 dst_sel:DWORD dst_unused:UNUSED_PAD src0_sel:WORD_1 src1_sel:DWORD
	ds_write2st64_b32 v48, v2, v6 offset0:12 offset1:14
	v_pack_b32_f16 v2, v12, v10
	v_fmac_f16_e32 v9, v54, v16
	v_mul_f16_sdwa v6, v53, v13 dst_sel:DWORD dst_unused:UNUSED_PAD src0_sel:WORD_1 src1_sel:DWORD
	s_waitcnt vmcnt(12)
	v_lshrrev_b32_e32 v10, 16, v18
	v_mul_f16_sdwa v12, v52, v18 dst_sel:DWORD dst_unused:UNUSED_PAD src0_sel:WORD_1 src1_sel:DWORD
	v_fma_f16 v13, v53, v13, -v14
	v_pack_b32_f16 v9, v9, v11
	v_fmac_f16_e32 v6, v53, v17
	v_mul_f16_sdwa v11, v52, v10 dst_sel:DWORD dst_unused:UNUSED_PAD src0_sel:WORD_1 src1_sel:DWORD
	v_fma_f16 v10, v52, v10, -v12
	s_waitcnt vmcnt(9)
	v_lshrrev_b32_e32 v12, 16, v19
	v_mul_f16_sdwa v14, v51, v19 dst_sel:DWORD dst_unused:UNUSED_PAD src0_sel:WORD_1 src1_sel:DWORD
	ds_write2st64_b32 v48, v5, v9 offset0:32 offset1:34
	v_pack_b32_f16 v5, v6, v13
	v_fmac_f16_e32 v11, v52, v18
	v_mul_f16_sdwa v6, v51, v12 dst_sel:DWORD dst_unused:UNUSED_PAD src0_sel:WORD_1 src1_sel:DWORD
	v_fma_f16 v9, v51, v12, -v14
	s_waitcnt vmcnt(6)
	v_lshrrev_b32_e32 v12, 16, v20
	v_mul_f16_sdwa v13, v50, v20 dst_sel:DWORD dst_unused:UNUSED_PAD src0_sel:WORD_1 src1_sel:DWORD
	ds_write2st64_b32 v48, v8, v5 offset0:4 offset1:6
	v_pack_b32_f16 v5, v11, v10
	v_fmac_f16_e32 v6, v51, v19
	s_waitcnt vmcnt(5)
	v_lshrrev_b32_e32 v8, 16, v21
	v_mul_f16_sdwa v10, v50, v12 dst_sel:DWORD dst_unused:UNUSED_PAD src0_sel:WORD_1 src1_sel:DWORD
	v_fma_f16 v11, v50, v12, -v13
	v_mul_f16_sdwa v12, v49, v21 dst_sel:DWORD dst_unused:UNUSED_PAD src0_sel:WORD_1 src1_sel:DWORD
	s_waitcnt vmcnt(4)
	v_lshrrev_b32_e32 v13, 16, v22
	v_pack_b32_f16 v6, v6, v9
	v_mul_f16_sdwa v9, v49, v8 dst_sel:DWORD dst_unused:UNUSED_PAD src0_sel:WORD_1 src1_sel:DWORD
	s_waitcnt vmcnt(3)
	v_lshrrev_b32_e32 v14, 16, v3
	v_fma_f16 v8, v49, v8, -v12
	v_mul_f16_sdwa v12, v47, v22 dst_sel:DWORD dst_unused:UNUSED_PAD src0_sel:WORD_1 src1_sel:DWORD
	s_waitcnt vmcnt(2)
	v_lshrrev_b32_e32 v16, 16, v1
	v_mul_f16_sdwa v15, v47, v13 dst_sel:DWORD dst_unused:UNUSED_PAD src0_sel:WORD_1 src1_sel:DWORD
	s_waitcnt vmcnt(1)
	v_mul_f16_sdwa v17, v46, v14 dst_sel:DWORD dst_unused:UNUSED_PAD src0_sel:WORD_1 src1_sel:DWORD
	s_waitcnt vmcnt(0)
	v_mul_f16_sdwa v18, v45, v1 dst_sel:DWORD dst_unused:UNUSED_PAD src0_sel:WORD_1 src1_sel:DWORD
	v_fma_f16 v12, v47, v13, -v12
	v_mul_f16_sdwa v13, v46, v3 dst_sel:DWORD dst_unused:UNUSED_PAD src0_sel:WORD_1 src1_sel:DWORD
	v_mul_f16_sdwa v19, v45, v16 dst_sel:DWORD dst_unused:UNUSED_PAD src0_sel:WORD_1 src1_sel:DWORD
	v_fmac_f16_e32 v9, v49, v21
	v_fmac_f16_e32 v15, v47, v22
	;; [unrolled: 1-line block ×3, first 2 shown]
	v_fma_f16 v13, v46, v14, -v13
	v_fmac_f16_e32 v17, v46, v3
	v_fma_f16 v3, v45, v16, -v18
	v_fmac_f16_e32 v19, v45, v1
	v_pack_b32_f16 v8, v9, v8
	v_pack_b32_f16 v9, v15, v12
	;; [unrolled: 1-line block ×5, first 2 shown]
	ds_write2st64_b32 v48, v2, v6 offset0:24 offset1:26
	ds_write2st64_b32 v48, v8, v4 offset0:8 offset1:10
	;; [unrolled: 1-line block ×5, first 2 shown]
	s_waitcnt lgkmcnt(0)
	s_barrier
	buffer_gl0_inv
	ds_read2st64_b32 v[1:2], v48 offset1:2
	ds_read2st64_b32 v[3:4], v48 offset0:8 offset1:10
	ds_read2st64_b32 v[6:7], v48 offset0:20 offset1:22
	;; [unrolled: 1-line block ×9, first 2 shown]
	v_and_b32_e32 v5, 3, v0
	s_waitcnt lgkmcnt(0)
	s_barrier
	buffer_gl0_inv
	v_mad_u64_u32 v[22:23], null, v5, 12, s[2:3]
	v_pk_add_f16 v6, v1, v6 neg_lo:[0,1] neg_hi:[0,1]
	v_pk_add_f16 v9, v4, v9 neg_lo:[0,1] neg_hi:[0,1]
	;; [unrolled: 1-line block ×10, first 2 shown]
	v_pk_fma_f16 v1, v1, 2.0, v6 op_sel_hi:[1,0,1] neg_lo:[0,0,1] neg_hi:[0,0,1]
	v_pk_fma_f16 v4, v4, 2.0, v9 op_sel_hi:[1,0,1] neg_lo:[0,0,1] neg_hi:[0,0,1]
	v_lshrrev_b32_e32 v27, 16, v6
	v_pk_fma_f16 v8, v10, 2.0, v12 op_sel_hi:[1,0,1] neg_lo:[0,0,1] neg_hi:[0,0,1]
	v_lshrrev_b32_e32 v10, 16, v7
	v_pk_fma_f16 v14, v14, 2.0, v24 op_sel_hi:[1,0,1] neg_lo:[0,0,1] neg_hi:[0,0,1]
	v_pk_fma_f16 v11, v11, 2.0, v13 op_sel_hi:[1,0,1] neg_lo:[0,0,1] neg_hi:[0,0,1]
	v_lshrrev_b32_e32 v66, 16, v24
	v_pk_fma_f16 v15, v15, 2.0, v17 op_sel_hi:[1,0,1] neg_lo:[0,0,1] neg_hi:[0,0,1]
	;; [unrolled: 3-line block ×3, first 2 shown]
	v_pk_fma_f16 v19, v19, 2.0, v21 op_sel_hi:[1,0,1] neg_lo:[0,0,1] neg_hi:[0,0,1]
	v_lshrrev_b32_e32 v69, 16, v25
	v_sub_f16_sdwa v26, v6, v9 dst_sel:DWORD dst_unused:UNUSED_PAD src0_sel:DWORD src1_sel:WORD_1
	v_pk_fma_f16 v2, v2, 2.0, v7 op_sel_hi:[1,0,1] neg_lo:[0,0,1] neg_hi:[0,0,1]
	v_pk_add_f16 v3, v1, v4 neg_lo:[0,1] neg_hi:[0,1]
	v_add_f16_e32 v4, v27, v9
	v_sub_f16_sdwa v28, v7, v12 dst_sel:DWORD dst_unused:UNUSED_PAD src0_sel:DWORD src1_sel:WORD_1
	v_add_f16_e32 v9, v10, v12
	v_sub_f16_sdwa v29, v24, v13 dst_sel:DWORD dst_unused:UNUSED_PAD src0_sel:DWORD src1_sel:WORD_1
	v_pk_add_f16 v12, v14, v11 neg_lo:[0,1] neg_hi:[0,1]
	v_add_f16_e32 v11, v66, v13
	v_sub_f16_sdwa v18, v17, v20 dst_sel:DWORD dst_unused:UNUSED_PAD src0_sel:DWORD src1_sel:WORD_1
	v_pk_add_f16 v16, v15, v16 neg_lo:[0,1] neg_hi:[0,1]
	;; [unrolled: 3-line block ×3, first 2 shown]
	v_add_f16_e32 v19, v69, v21
	v_fma_f16 v71, v6, 2.0, -v26
	v_pk_add_f16 v8, v2, v8 neg_lo:[0,1] neg_hi:[0,1]
	v_fma_f16 v27, v27, 2.0, -v4
	v_fma_f16 v7, v7, 2.0, -v28
	v_pack_b32_f16 v4, v26, v4
	v_fma_f16 v26, v10, 2.0, -v9
	v_fma_f16 v24, v24, 2.0, -v29
	v_pack_b32_f16 v9, v28, v9
	v_fma_f16 v28, v66, 2.0, -v11
	v_fma_f16 v73, v17, 2.0, -v18
	v_pk_fma_f16 v10, v14, 2.0, v12 op_sel_hi:[1,0,1] neg_lo:[0,0,1] neg_hi:[0,0,1]
	v_pk_fma_f16 v14, v15, 2.0, v16 op_sel_hi:[1,0,1] neg_lo:[0,0,1] neg_hi:[0,0,1]
	v_fma_f16 v15, v67, 2.0, -v72
	v_fma_f16 v25, v25, 2.0, -v70
	v_pack_b32_f16 v13, v29, v11
	v_fma_f16 v29, v69, 2.0, -v19
	v_pk_fma_f16 v1, v1, 2.0, v3 op_sel_hi:[1,0,1] neg_lo:[0,0,1] neg_hi:[0,0,1]
	v_pk_fma_f16 v6, v2, 2.0, v8 op_sel_hi:[1,0,1] neg_lo:[0,0,1] neg_hi:[0,0,1]
	v_pack_b32_f16 v2, v71, v27
	v_pack_b32_f16 v7, v7, v26
	;; [unrolled: 1-line block ×5, first 2 shown]
	v_pk_fma_f16 v18, v68, 2.0, v20 op_sel_hi:[1,0,1] neg_lo:[0,0,1] neg_hi:[0,0,1]
	v_pack_b32_f16 v21, v70, v19
	v_pack_b32_f16 v19, v25, v29
	ds_write_b128 v43, v[1:4]
	ds_write_b128 v43, v[6:9] offset:2048
	ds_write_b128 v43, v[10:13] offset:4096
	;; [unrolled: 1-line block ×4, first 2 shown]
	s_waitcnt lgkmcnt(0)
	s_barrier
	buffer_gl0_inv
	global_load_dwordx3 v[9:11], v[22:23], off
	v_or_b32_e32 v3, 0x600, v48
	v_and_or_b32 v6, 0x1f0, v48, v5
	v_or_b32_e32 v17, 0x80, v0
	v_or_b32_e32 v2, 0x400, v48
	v_and_b32_e32 v4, 15, v0
	v_and_or_b32 v26, 0x7f0, v3, v5
	v_lshlrev_b32_e32 v68, 2, v6
	ds_read2st64_b32 v[6:7], v48 offset0:8 offset1:10
	ds_read2st64_b32 v[12:13], v48 offset0:20 offset1:22
	ds_read2st64_b32 v[14:15], v48 offset1:2
	ds_read2st64_b32 v[18:19], v48 offset0:28 offset1:30
	ds_read2st64_b32 v[20:21], v48 offset0:12 offset1:14
	;; [unrolled: 1-line block ×4, first 2 shown]
	v_lshlrev_b32_e32 v71, 2, v26
	ds_read2st64_b32 v[26:27], v48 offset0:16 offset1:18
	ds_read2st64_b32 v[28:29], v48 offset0:36 offset1:38
	v_lshlrev_b32_e32 v1, 2, v17
	ds_read2st64_b32 v[77:78], v48 offset0:4 offset1:6
	v_and_or_b32 v16, 0x5f0, v2, v5
	v_mad_u64_u32 v[66:67], null, v4, 12, s[2:3]
	v_and_or_b32 v8, 0x3f0, v1, v5
	v_and_or_b32 v5, 0x9f0, v44, v5
	v_lshlrev_b32_e32 v70, 2, v16
	s_waitcnt vmcnt(0) lgkmcnt(0)
	s_barrier
	v_lshlrev_b32_e32 v69, 2, v8
	v_lshlrev_b32_e32 v72, 2, v5
	v_lshrrev_b32_e32 v5, 16, v7
	v_lshrrev_b32_e32 v8, 16, v12
	;; [unrolled: 1-line block ×20, first 2 shown]
	buffer_gl0_inv
	v_mul_f16_sdwa v95, v5, v9 dst_sel:DWORD dst_unused:UNUSED_PAD src0_sel:DWORD src1_sel:WORD_1
	v_mul_f16_sdwa v96, v7, v9 dst_sel:DWORD dst_unused:UNUSED_PAD src0_sel:DWORD src1_sel:WORD_1
	;; [unrolled: 1-line block ×30, first 2 shown]
	v_fma_f16 v7, v7, v9, -v95
	v_fmac_f16_e32 v96, v5, v9
	v_fma_f16 v5, v12, v10, -v97
	v_fmac_f16_e32 v98, v8, v10
	;; [unrolled: 2-line block ×3, first 2 shown]
	v_fma_f16 v12, v13, v10, -v101
	v_fma_f16 v13, v20, v9, -v103
	;; [unrolled: 1-line block ×6, first 2 shown]
	v_fmac_f16_e32 v105, v80, v9
	v_fmac_f16_e32 v102, v79, v10
	;; [unrolled: 1-line block ×6, first 2 shown]
	v_fma_f16 v23, v25, v10, -v112
	v_fma_f16 v24, v26, v9, -v115
	;; [unrolled: 1-line block ×3, first 2 shown]
	v_fmac_f16_e32 v117, v86, v9
	v_fmac_f16_e32 v114, v85, v10
	;; [unrolled: 1-line block ×3, first 2 shown]
	v_fma_f16 v25, v27, v9, -v116
	v_fma_f16 v18, v18, v10, -v119
	;; [unrolled: 1-line block ×3, first 2 shown]
	v_fmac_f16_e32 v118, v87, v9
	v_fmac_f16_e32 v120, v88, v10
	;; [unrolled: 1-line block ×3, first 2 shown]
	v_sub_f16_e32 v5, v14, v5
	v_sub_f16_e32 v28, v16, v98
	;; [unrolled: 1-line block ×20, first 2 shown]
	v_fma_f16 v14, v14, 2.0, -v5
	v_fma_f16 v16, v16, 2.0, -v28
	;; [unrolled: 1-line block ×4, first 2 shown]
	v_sub_f16_e32 v29, v5, v29
	v_add_f16_e32 v8, v28, v8
	v_fma_f16 v15, v15, 2.0, -v12
	v_fma_f16 v13, v13, 2.0, -v20
	v_fma_f16 v87, v105, 2.0, -v73
	v_sub_f16_e32 v73, v12, v73
	v_add_f16_e32 v20, v79, v20
	v_fma_f16 v88, v91, 2.0, -v79
	v_fma_f16 v19, v19, 2.0, -v21
	v_fma_f16 v89, v106, 2.0, -v80
	;; [unrolled: 5-line block ×3, first 2 shown]
	v_fma_f16 v24, v24, 2.0, -v26
	v_fma_f16 v91, v117, 2.0, -v82
	v_sub_f16_e32 v82, v23, v82
	v_add_f16_e32 v26, v83, v26
	v_fma_f16 v92, v93, 2.0, -v83
	v_fma_f16 v6, v6, 2.0, -v18
	;; [unrolled: 1-line block ×5, first 2 shown]
	v_sub_f16_e32 v84, v18, v84
	v_add_f16_e32 v27, v85, v27
	v_sub_f16_e32 v7, v14, v7
	v_sub_f16_e32 v86, v16, v86
	v_pack_b32_f16 v95, v29, v8
	v_fma_f16 v5, v5, 2.0, -v29
	v_fma_f16 v8, v28, 2.0, -v8
	v_fma_f16 v12, v12, 2.0, -v73
	v_fma_f16 v28, v79, 2.0, -v20
	v_fma_f16 v22, v22, 2.0, -v80
	v_fma_f16 v29, v81, 2.0, -v21
	v_pack_b32_f16 v21, v80, v21
	v_sub_f16_e32 v13, v15, v13
	v_sub_f16_e32 v80, v88, v87
	;; [unrolled: 1-line block ×4, first 2 shown]
	v_pack_b32_f16 v20, v73, v20
	v_fma_f16 v23, v23, 2.0, -v82
	v_fma_f16 v73, v83, 2.0, -v26
	v_pack_b32_f16 v26, v82, v26
	v_sub_f16_e32 v24, v78, v24
	v_sub_f16_e32 v82, v92, v91
	;; [unrolled: 1-line block ×4, first 2 shown]
	v_fma_f16 v18, v18, 2.0, -v84
	v_fma_f16 v79, v85, 2.0, -v27
	v_pack_b32_f16 v27, v84, v27
	v_pack_b32_f16 v84, v7, v86
	v_fma_f16 v7, v14, 2.0, -v7
	v_fma_f16 v14, v16, 2.0, -v86
	v_pack_b32_f16 v5, v5, v8
	v_pack_b32_f16 v8, v12, v28
	;; [unrolled: 4-line block ×3, first 2 shown]
	v_fma_f16 v22, v77, 2.0, -v19
	v_fma_f16 v28, v90, 2.0, -v81
	v_pack_b32_f16 v23, v23, v73
	v_fma_f16 v29, v78, 2.0, -v24
	v_fma_f16 v73, v92, 2.0, -v82
	v_pack_b32_f16 v19, v19, v81
	v_pack_b32_f16 v24, v24, v82
	v_fma_f16 v6, v6, 2.0, -v25
	v_fma_f16 v77, v94, 2.0, -v83
	v_pack_b32_f16 v25, v25, v83
	v_pack_b32_f16 v7, v7, v14
	;; [unrolled: 1-line block ×3, first 2 shown]
	ds_write2_b32 v69, v13, v20 offset0:8 offset1:12
	v_pack_b32_f16 v13, v22, v28
	v_pack_b32_f16 v14, v29, v73
	;; [unrolled: 1-line block ×3, first 2 shown]
	ds_write2_b32 v68, v84, v95 offset0:8 offset1:12
	ds_write2_b32 v70, v19, v21 offset0:8 offset1:12
	ds_write2_b32 v71, v24, v26 offset0:8 offset1:12
	v_pack_b32_f16 v6, v6, v77
	ds_write2_b32 v72, v25, v27 offset0:8 offset1:12
	ds_write2_b32 v68, v7, v5 offset1:4
	ds_write2_b32 v69, v12, v8 offset1:4
	;; [unrolled: 1-line block ×5, first 2 shown]
	s_waitcnt lgkmcnt(0)
	s_barrier
	buffer_gl0_inv
	global_load_dwordx3 v[12:14], v[66:67], off offset:48
	v_and_or_b32 v5, 0x1c0, v48, v4
	v_and_or_b32 v23, 0x7c0, v3, v4
	;; [unrolled: 1-line block ×5, first 2 shown]
	v_lshlrev_b32_e32 v77, 2, v5
	ds_read2st64_b32 v[1:2], v48 offset0:8 offset1:10
	ds_read2st64_b32 v[5:6], v48 offset0:20 offset1:22
	ds_read2st64_b32 v[7:8], v48 offset1:2
	ds_read2st64_b32 v[19:20], v48 offset0:28 offset1:30
	ds_read2st64_b32 v[3:4], v48 offset0:12 offset1:14
	ds_read2st64_b32 v[21:22], v48 offset0:32 offset1:34
	v_lshlrev_b32_e32 v80, 2, v23
	ds_read2st64_b32 v[23:24], v48 offset0:24 offset1:26
	ds_read2st64_b32 v[25:26], v48 offset0:4 offset1:6
	v_lshlrev_b32_e32 v81, 2, v27
	ds_read2st64_b32 v[27:28], v48 offset0:16 offset1:18
	ds_read2st64_b32 v[66:67], v48 offset0:36 offset1:38
	v_and_b32_e32 v18, 63, v0
	v_lshlrev_b32_e32 v78, 2, v15
	v_lshlrev_b32_e32 v79, 2, v16
	s_waitcnt vmcnt(0) lgkmcnt(0)
	s_barrier
	v_mad_u64_u32 v[15:16], null, v18, 36, s[2:3]
	buffer_gl0_inv
	v_lshrrev_b32_e32 v29, 16, v2
	v_lshrrev_b32_e32 v73, 16, v5
	;; [unrolled: 1-line block ×20, first 2 shown]
	v_mul_f16_sdwa v100, v29, v12 dst_sel:DWORD dst_unused:UNUSED_PAD src0_sel:DWORD src1_sel:WORD_1
	v_mul_f16_sdwa v101, v2, v12 dst_sel:DWORD dst_unused:UNUSED_PAD src0_sel:DWORD src1_sel:WORD_1
	;; [unrolled: 1-line block ×30, first 2 shown]
	v_fma_f16 v2, v2, v12, -v100
	v_fmac_f16_e32 v101, v29, v12
	v_fma_f16 v5, v5, v13, -v102
	v_fmac_f16_e32 v103, v73, v13
	;; [unrolled: 2-line block ×4, first 2 shown]
	v_fmac_f16_e32 v108, v86, v12
	v_fmac_f16_e32 v110, v87, v14
	v_fma_f16 v3, v3, v12, -v109
	v_fma_f16 v21, v21, v14, -v111
	;; [unrolled: 1-line block ×4, first 2 shown]
	v_fmac_f16_e32 v113, v88, v12
	v_fmac_f16_e32 v115, v89, v14
	;; [unrolled: 1-line block ×3, first 2 shown]
	v_fma_f16 v23, v23, v13, -v117
	v_fma_f16 v24, v24, v13, -v118
	;; [unrolled: 1-line block ×7, first 2 shown]
	v_fmac_f16_e32 v122, v93, v12
	v_fmac_f16_e32 v119, v92, v13
	;; [unrolled: 1-line block ×6, first 2 shown]
	v_sub_f16_e32 v5, v7, v5
	v_sub_f16_e32 v67, v82, v103
	;; [unrolled: 1-line block ×20, first 2 shown]
	v_fma_f16 v7, v7, 2.0, -v5
	v_fma_f16 v82, v82, 2.0, -v67
	;; [unrolled: 1-line block ×12, first 2 shown]
	v_sub_f16_e32 v73, v5, v73
	v_add_f16_e32 v20, v67, v20
	v_sub_f16_e32 v84, v6, v84
	v_add_f16_e32 v21, v83, v21
	;; [unrolled: 2-line block ×3, first 2 shown]
	v_fma_f16 v26, v26, 2.0, -v24
	v_fma_f16 v1, v1, 2.0, -v19
	;; [unrolled: 1-line block ×8, first 2 shown]
	v_sub_f16_e32 v88, v24, v88
	v_add_f16_e32 v29, v89, v29
	v_sub_f16_e32 v2, v7, v2
	v_sub_f16_e32 v93, v82, v93
	;; [unrolled: 1-line block ×6, first 2 shown]
	v_pack_b32_f16 v100, v73, v20
	v_pack_b32_f16 v101, v84, v21
	;; [unrolled: 1-line block ×3, first 2 shown]
	v_fma_f16 v5, v5, 2.0, -v73
	v_fma_f16 v20, v67, 2.0, -v20
	;; [unrolled: 1-line block ×6, first 2 shown]
	v_sub_f16_e32 v27, v26, v27
	v_sub_f16_e32 v83, v97, v96
	;; [unrolled: 1-line block ×5, first 2 shown]
	v_add_f16_e32 v66, v92, v66
	v_fma_f16 v24, v24, 2.0, -v88
	v_fma_f16 v67, v89, 2.0, -v29
	v_pack_b32_f16 v86, v2, v93
	v_fma_f16 v2, v7, 2.0, -v2
	v_fma_f16 v7, v82, 2.0, -v93
	v_pack_b32_f16 v87, v3, v94
	;; [unrolled: 3-line block ×3, first 2 shown]
	v_pack_b32_f16 v88, v4, v95
	v_fma_f16 v4, v25, 2.0, -v4
	v_fma_f16 v25, v91, 2.0, -v95
	v_pack_b32_f16 v5, v5, v20
	v_pack_b32_f16 v20, v23, v22
	v_fma_f16 v22, v26, 2.0, -v27
	v_fma_f16 v23, v97, 2.0, -v83
	;; [unrolled: 1-line block ×6, first 2 shown]
	v_pack_b32_f16 v66, v90, v66
	v_pack_b32_f16 v6, v6, v21
	v_pack_b32_f16 v21, v24, v67
	v_pack_b32_f16 v24, v27, v83
	v_pack_b32_f16 v27, v28, v84
	v_pack_b32_f16 v2, v2, v7
	v_pack_b32_f16 v3, v3, v8
	v_pack_b32_f16 v4, v4, v25
	v_pack_b32_f16 v7, v22, v23
	v_pack_b32_f16 v1, v1, v26
	v_pack_b32_f16 v19, v19, v73
	ds_write2_b32 v77, v86, v100 offset0:32 offset1:48
	ds_write2_b32 v78, v87, v101 offset0:32 offset1:48
	;; [unrolled: 1-line block ×5, first 2 shown]
	ds_write2_b32 v77, v2, v5 offset1:16
	ds_write2_b32 v78, v3, v6 offset1:16
	;; [unrolled: 1-line block ×5, first 2 shown]
	s_waitcnt lgkmcnt(0)
	s_barrier
	buffer_gl0_inv
	s_clause 0x2
	global_load_dwordx4 v[1:4], v[15:16], off offset:240
	global_load_dwordx4 v[5:8], v[15:16], off offset:256
	global_load_dword v66, v[15:16], off offset:272
	v_lshrrev_b32_e32 v15, 6, v0
	v_lshrrev_b32_e32 v16, 6, v17
	v_mul_u32_u24_e32 v15, 0x280, v15
	v_mul_u32_u24_e32 v16, 0x280, v16
	v_or_b32_e32 v17, v15, v18
	v_or_b32_e32 v18, v16, v18
	v_mad_u64_u32 v[15:16], null, v0, 12, s[2:3]
	s_mov_b32 s2, 0x9999999a
	v_lshlrev_b32_e32 v67, 2, v17
	v_lshlrev_b32_e32 v73, 2, v18
	ds_read2st64_b32 v[17:18], v48 offset0:4 offset1:6
	ds_read2st64_b32 v[19:20], v48 offset0:8 offset1:10
	;; [unrolled: 1-line block ×9, first 2 shown]
	ds_read2st64_b32 v[92:93], v48 offset1:2
	v_add_co_u32 v27, vcc_lo, 0x800, v15
	v_add_co_ci_u32_e32 v28, vcc_lo, 0, v16, vcc_lo
	v_add_co_u32 v86, vcc_lo, 0x1000, v15
	v_add_co_ci_u32_e32 v87, vcc_lo, 0, v16, vcc_lo
	s_waitcnt vmcnt(0) lgkmcnt(0)
	s_barrier
	buffer_gl0_inv
	s_mov_b32 s3, 0x3f399999
	v_lshrrev_b32_e32 v99, 16, v23
	v_lshrrev_b32_e32 v95, 16, v19
	;; [unrolled: 1-line block ×20, first 2 shown]
	v_mul_f16_sdwa v117, v95, v2 dst_sel:DWORD dst_unused:UNUSED_PAD src0_sel:DWORD src1_sel:WORD_1
	v_mul_f16_sdwa v118, v96, v2 dst_sel:DWORD dst_unused:UNUSED_PAD src0_sel:DWORD src1_sel:WORD_1
	;; [unrolled: 1-line block ×35, first 2 shown]
	v_fma_f16 v19, v19, v2, -v117
	v_fma_f16 v20, v20, v2, -v118
	v_fma_f16 v22, v22, v3, -v122
	v_fma_f16 v23, v23, v4, -v125
	v_fma_f16 v24, v24, v4, -v126
	v_fma_f16 v26, v26, v5, -v130
	v_fma_f16 v82, v82, v6, -v133
	v_fma_f16 v83, v83, v6, -v134
	v_fma_f16 v85, v85, v7, -v138
	v_fma_f16 v88, v88, v8, -v141
	v_fma_f16 v89, v89, v8, -v142
	v_fma_f16 v91, v91, v66, -v146
	v_fmac_f16_e32 v119, v95, v2
	v_fmac_f16_e32 v127, v99, v4
	;; [unrolled: 1-line block ×8, first 2 shown]
	v_mul_f16_sdwa v114, v94, v1 dst_sel:DWORD dst_unused:UNUSED_PAD src0_sel:DWORD src1_sel:WORD_1
	v_fma_f16 v21, v21, v3, -v121
	v_fma_f16 v25, v25, v5, -v129
	v_fma_f16 v84, v84, v7, -v137
	v_fma_f16 v90, v90, v66, -v145
	v_fmac_f16_e32 v123, v97, v3
	v_fmac_f16_e32 v131, v101, v5
	v_fmac_f16_e32 v139, v105, v7
	v_fmac_f16_e32 v147, v109, v66
	v_fma_f16 v17, v17, v1, -v113
	v_fmac_f16_e32 v115, v29, v1
	v_fmac_f16_e32 v116, v94, v1
	;; [unrolled: 1-line block ×4, first 2 shown]
	v_add_f16_e32 v29, v24, v83
	v_add_f16_e32 v94, v20, v89
	v_sub_f16_e32 v96, v24, v20
	v_sub_f16_e32 v97, v83, v89
	;; [unrolled: 1-line block ×4, first 2 shown]
	v_add_f16_e32 v103, v132, v140
	v_add_f16_e32 v104, v124, v148
	v_sub_f16_e32 v125, v19, v23
	v_sub_f16_e32 v126, v88, v82
	;; [unrolled: 1-line block ×4, first 2 shown]
	v_fma_f16 v18, v18, v1, -v114
	v_add_f16_e32 v98, v26, v85
	v_add_f16_e32 v99, v22, v91
	v_sub_f16_e32 v106, v132, v124
	v_sub_f16_e32 v107, v140, v148
	;; [unrolled: 1-line block ×6, first 2 shown]
	v_add_f16_e32 v95, v93, v20
	v_add_f16_e32 v105, v116, v124
	;; [unrolled: 1-line block ×7, first 2 shown]
	v_sub_f16_e32 v150, v21, v90
	v_sub_f16_e32 v154, v23, v19
	v_fma_f16 v29, -0.5, v29, v93
	v_fmac_f16_e32 v93, -0.5, v94
	v_sub_f16_e32 v94, v82, v88
	v_add_f16_e32 v96, v96, v97
	v_sub_f16_e32 v97, v127, v119
	v_add_f16_e32 v101, v101, v102
	v_sub_f16_e32 v102, v135, v143
	v_fma_f16 v103, -0.5, v103, v116
	v_fmac_f16_e32 v116, -0.5, v104
	v_sub_f16_e32 v104, v25, v21
	v_add_f16_e32 v21, v21, v90
	v_add_f16_e32 v125, v125, v126
	v_sub_f16_e32 v126, v131, v123
	v_add_f16_e32 v129, v129, v130
	v_sub_f16_e32 v130, v139, v147
	v_fmac_f16_e32 v128, v100, v4
	v_fmac_f16_e32 v144, v108, v8
	v_add_f16_e32 v100, v18, v22
	v_add_f16_e32 v122, v92, v19
	v_sub_f16_e32 v152, v123, v147
	v_add_f16_e32 v153, v127, v135
	v_fma_f16 v98, -0.5, v98, v18
	v_fmac_f16_e32 v18, -0.5, v99
	v_add_f16_e32 v99, v119, v143
	v_add_f16_e32 v106, v106, v107
	v_sub_f16_e32 v107, v84, v90
	v_add_f16_e32 v123, v123, v147
	v_add_f16_e32 v133, v133, v134
	v_sub_f16_e32 v134, v20, v24
	v_add_f16_e32 v137, v137, v138
	v_sub_f16_e32 v138, v89, v83
	v_sub_f16_e32 v109, v132, v140
	;; [unrolled: 1-line block ×4, first 2 shown]
	v_add_f16_e32 v94, v154, v94
	v_sub_f16_e32 v154, v131, v139
	v_add_f16_e32 v97, v97, v102
	v_sub_f16_e32 v102, v127, v135
	v_sub_f16_e32 v22, v22, v26
	v_fma_f16 v146, -0.5, v146, v17
	v_fmac_f16_e32 v17, -0.5, v21
	v_sub_f16_e32 v21, v91, v85
	v_sub_f16_e32 v124, v124, v132
	v_fma_f16 v149, -0.5, v149, v115
	v_add_f16_e32 v131, v145, v131
	v_sub_f16_e32 v145, v148, v140
	v_add_f16_e32 v126, v126, v130
	v_add_f16_e32 v130, v111, v120
	;; [unrolled: 1-line block ×3, first 2 shown]
	v_sub_f16_e32 v113, v120, v144
	v_add_f16_e32 v118, v23, v82
	v_add_f16_e32 v121, v19, v88
	v_sub_f16_e32 v151, v25, v84
	v_add_f16_e32 v25, v142, v25
	v_sub_f16_e32 v142, v120, v128
	v_fma_f16 v153, -0.5, v153, v112
	v_fmac_f16_e32 v112, -0.5, v99
	v_sub_f16_e32 v99, v144, v136
	v_add_f16_e32 v104, v104, v107
	v_sub_f16_e32 v107, v23, v82
	v_fmac_f16_e32 v115, -0.5, v123
	v_add_f16_e32 v134, v134, v138
	v_add_f16_e32 v138, v128, v136
	v_sub_f16_e32 v141, v128, v120
	v_add_f16_e32 v120, v120, v144
	v_add_f16_e32 v23, v122, v23
	v_sub_f16_e32 v108, v128, v136
	v_sub_f16_e32 v110, v26, v85
	v_sub_f16_e32 v123, v24, v83
	v_add_f16_e32 v26, v100, v26
	v_add_f16_e32 v21, v22, v21
	;; [unrolled: 1-line block ×6, first 2 shown]
	v_fmamk_f16 v122, v109, 0xbb9c, v18
	v_fmac_f16_e32 v18, 0x3b9c, v109
	v_add_f16_e32 v124, v127, v135
	v_fmamk_f16 v127, v150, 0xbb9c, v149
	v_fmamk_f16 v128, v152, 0x3b9c, v146
	v_add_f16_e32 v99, v142, v99
	v_sub_f16_e32 v142, v136, v144
	v_fma_f16 v105, -0.5, v118, v92
	v_fma_f16 v92, -0.5, v121, v92
	;; [unrolled: 1-line block ×3, first 2 shown]
	v_fmac_f16_e32 v111, -0.5, v120
	v_add_f16_e32 v23, v23, v82
	v_add_f16_e32 v25, v25, v84
	;; [unrolled: 1-line block ×3, first 2 shown]
	v_fmamk_f16 v132, v154, 0xbb9c, v17
	v_fmac_f16_e32 v17, 0x3b9c, v154
	v_fmamk_f16 v135, v151, 0x3b9c, v115
	v_fmac_f16_e32 v115, 0xbb9c, v151
	v_fmac_f16_e32 v146, 0xbb9c, v152
	;; [unrolled: 1-line block ×3, first 2 shown]
	v_sub_f16_e32 v119, v119, v143
	v_sub_f16_e32 v19, v19, v88
	;; [unrolled: 1-line block ×3, first 2 shown]
	v_fmamk_f16 v82, v110, 0x3b9c, v116
	v_fmac_f16_e32 v116, 0xbb9c, v110
	v_add_f16_e32 v24, v24, v83
	v_add_f16_e32 v26, v26, v85
	;; [unrolled: 1-line block ×3, first 2 shown]
	v_fmamk_f16 v131, v107, 0x3b9c, v112
	v_fmac_f16_e32 v112, 0xbb9c, v107
	v_add_f16_e32 v100, v100, v136
	v_fmamk_f16 v136, v117, 0xbb9c, v103
	v_fmamk_f16 v138, v114, 0x3b9c, v98
	v_fmac_f16_e32 v98, 0xbb9c, v114
	v_fmac_f16_e32 v103, 0x3b9c, v117
	;; [unrolled: 1-line block ×5, first 2 shown]
	v_add_f16_e32 v120, v141, v142
	v_fmamk_f16 v85, v102, 0xbb9c, v92
	v_fmac_f16_e32 v92, 0x3b9c, v102
	v_fmamk_f16 v141, v123, 0x3b9c, v111
	v_fmac_f16_e32 v111, 0xbb9c, v123
	v_add_f16_e32 v23, v23, v88
	v_add_f16_e32 v88, v124, v143
	;; [unrolled: 1-line block ×4, first 2 shown]
	v_fmac_f16_e32 v132, 0x38b4, v152
	v_fmac_f16_e32 v17, 0xb8b4, v152
	;; [unrolled: 1-line block ×4, first 2 shown]
	v_fmamk_f16 v121, v108, 0xbb9c, v93
	v_fmac_f16_e32 v93, 0x3b9c, v108
	v_fmac_f16_e32 v146, 0xb8b4, v154
	;; [unrolled: 1-line block ×3, first 2 shown]
	v_fmamk_f16 v130, v119, 0x3b9c, v105
	v_fmamk_f16 v83, v19, 0xbb9c, v153
	v_fmac_f16_e32 v153, 0x3b9c, v19
	v_fmamk_f16 v140, v20, 0xbb9c, v118
	v_fmac_f16_e32 v118, 0x3b9c, v20
	v_fmac_f16_e32 v131, 0xb8b4, v19
	;; [unrolled: 1-line block ×4, first 2 shown]
	v_add_f16_e32 v19, v24, v89
	v_add_f16_e32 v24, v26, v91
	;; [unrolled: 1-line block ×4, first 2 shown]
	v_fmac_f16_e32 v136, 0xb8b4, v110
	v_fmac_f16_e32 v138, 0x38b4, v109
	;; [unrolled: 1-line block ×13, first 2 shown]
	v_add_f16_e32 v20, v23, v25
	v_add_f16_e32 v89, v88, v84
	v_fmac_f16_e32 v132, 0x34f2, v104
	v_fmac_f16_e32 v17, 0x34f2, v104
	;; [unrolled: 1-line block ×9, first 2 shown]
	v_fmamk_f16 v139, v113, 0x3b9c, v29
	v_fmac_f16_e32 v29, 0xbb9c, v113
	v_fmac_f16_e32 v130, 0x38b4, v102
	;; [unrolled: 1-line block ×6, first 2 shown]
	v_sub_f16_e32 v23, v23, v25
	v_sub_f16_e32 v25, v88, v84
	v_add_f16_e32 v84, v19, v24
	v_add_f16_e32 v88, v26, v22
	v_fmac_f16_e32 v136, 0x34f2, v95
	v_fmac_f16_e32 v138, 0x34f2, v21
	;; [unrolled: 1-line block ×6, first 2 shown]
	v_sub_f16_e32 v19, v19, v24
	v_sub_f16_e32 v21, v26, v22
	v_mul_f16_e32 v22, 0xb4f2, v18
	v_mul_f16_e32 v24, 0x38b4, v127
	;; [unrolled: 1-line block ×3, first 2 shown]
	v_fmac_f16_e32 v85, 0x34f2, v94
	v_fmac_f16_e32 v92, 0x34f2, v94
	v_pack_b32_f16 v20, v20, v89
	v_mul_f16_e32 v89, 0x3b9c, v135
	v_mul_f16_e32 v90, 0xbb9c, v132
	;; [unrolled: 1-line block ×4, first 2 shown]
	v_fmac_f16_e32 v105, 0xb8b4, v102
	v_fmac_f16_e32 v153, 0x38b4, v107
	;; [unrolled: 1-line block ×4, first 2 shown]
	v_mul_f16_e32 v95, 0xba79, v146
	v_mul_f16_e32 v96, 0xba79, v149
	v_fmac_f16_e32 v139, 0x38b4, v108
	v_fmac_f16_e32 v29, 0xb8b4, v108
	;; [unrolled: 1-line block ×8, first 2 shown]
	v_pack_b32_f16 v23, v23, v25
	v_pack_b32_f16 v25, v84, v88
	v_mul_f16_e32 v84, 0x38b4, v136
	v_mul_f16_e32 v88, 0xb8b4, v138
	;; [unrolled: 1-line block ×7, first 2 shown]
	v_fmac_f16_e32 v22, 0x3b9c, v116
	v_fmac_f16_e32 v24, 0x3a79, v128
	;; [unrolled: 1-line block ×15, first 2 shown]
	v_pack_b32_f16 v19, v19, v21
	v_fmac_f16_e32 v84, 0x3a79, v138
	v_fmac_f16_e32 v88, 0x3a79, v136
	;; [unrolled: 1-line block ×7, first 2 shown]
	v_add_f16_e32 v17, v93, v22
	v_sub_f16_e32 v18, v93, v22
	v_add_f16_e32 v21, v130, v24
	v_add_f16_e32 v22, v83, v26
	;; [unrolled: 1-line block ×8, first 2 shown]
	v_sub_f16_e32 v24, v130, v24
	v_sub_f16_e32 v85, v85, v89
	v_sub_f16_e32 v26, v83, v26
	v_sub_f16_e32 v83, v131, v90
	v_sub_f16_e32 v89, v92, v91
	v_sub_f16_e32 v90, v105, v95
	v_sub_f16_e32 v91, v112, v94
	v_sub_f16_e32 v92, v153, v96
	v_add_f16_e32 v94, v139, v84
	v_add_f16_e32 v95, v140, v88
	;; [unrolled: 1-line block ×7, first 2 shown]
	v_sub_f16_e32 v84, v139, v84
	v_sub_f16_e32 v97, v121, v97
	;; [unrolled: 1-line block ×7, first 2 shown]
	v_pack_b32_f16 v21, v21, v22
	v_pack_b32_f16 v22, v82, v93
	;; [unrolled: 1-line block ×16, first 2 shown]
	ds_write2st64_b32 v67, v20, v21 offset1:1
	ds_write2st64_b32 v67, v22, v82 offset0:2 offset1:3
	ds_write2st64_b32 v67, v93, v23 offset0:4 offset1:5
	;; [unrolled: 1-line block ×4, first 2 shown]
	ds_write2st64_b32 v73, v25, v89 offset1:1
	ds_write2st64_b32 v73, v90, v17 offset0:2 offset1:3
	ds_write2st64_b32 v73, v91, v19 offset0:4 offset1:5
	;; [unrolled: 1-line block ×4, first 2 shown]
	v_add_co_u32 v24, vcc_lo, 0x1800, v15
	v_add_co_ci_u32_e32 v25, vcc_lo, 0, v16, vcc_lo
	v_add_co_u32 v82, vcc_lo, 0x2000, v15
	v_add_co_ci_u32_e32 v83, vcc_lo, 0, v16, vcc_lo
	s_waitcnt lgkmcnt(0)
	s_barrier
	buffer_gl0_inv
	s_clause 0x4
	global_load_dwordx3 v[21:23], v[27:28], off offset:2032
	global_load_dwordx3 v[18:20], v[86:87], off offset:1520
	;; [unrolled: 1-line block ×5, first 2 shown]
	ds_read2st64_b32 v[82:83], v48 offset0:12 offset1:14
	ds_read2st64_b32 v[84:85], v48 offset0:32 offset1:34
	;; [unrolled: 1-line block ×4, first 2 shown]
	ds_read2st64_b32 v[90:91], v48 offset1:2
	ds_read2st64_b32 v[92:93], v48 offset0:4 offset1:6
	ds_read2st64_b32 v[94:95], v48 offset0:16 offset1:18
	;; [unrolled: 1-line block ×5, first 2 shown]
	s_waitcnt lgkmcnt(9)
	v_lshrrev_b32_e32 v102, 16, v82
	s_waitcnt lgkmcnt(8)
	v_lshrrev_b32_e32 v104, 16, v84
	;; [unrolled: 2-line block ×3, first 2 shown]
	v_lshrrev_b32_e32 v118, 16, v86
	v_lshrrev_b32_e32 v103, 16, v83
	v_lshrrev_b32_e32 v105, 16, v85
	s_waitcnt lgkmcnt(6)
	v_lshrrev_b32_e32 v107, 16, v88
	v_lshrrev_b32_e32 v110, 16, v89
	s_waitcnt lgkmcnt(1)
	v_lshrrev_b32_e32 v119, 16, v99
	s_waitcnt lgkmcnt(0)
	v_lshrrev_b32_e32 v121, 16, v101
	v_lshrrev_b32_e32 v111, 16, v94
	;; [unrolled: 1-line block ×11, first 2 shown]
	s_waitcnt vmcnt(4)
	v_mul_f16_sdwa v122, v102, v21 dst_sel:DWORD dst_unused:UNUSED_PAD src0_sel:DWORD src1_sel:WORD_1
	v_mul_f16_sdwa v124, v82, v21 dst_sel:DWORD dst_unused:UNUSED_PAD src0_sel:DWORD src1_sel:WORD_1
	v_mul_f16_sdwa v126, v104, v23 dst_sel:DWORD dst_unused:UNUSED_PAD src0_sel:DWORD src1_sel:WORD_1
	v_mul_f16_sdwa v128, v84, v23 dst_sel:DWORD dst_unused:UNUSED_PAD src0_sel:DWORD src1_sel:WORD_1
	v_mul_f16_sdwa v130, v87, v22 dst_sel:DWORD dst_unused:UNUSED_PAD src0_sel:DWORD src1_sel:WORD_1
	v_mul_f16_sdwa v131, v106, v22 dst_sel:DWORD dst_unused:UNUSED_PAD src0_sel:DWORD src1_sel:WORD_1
	s_waitcnt vmcnt(0)
	v_mul_f16_sdwa v146, v118, v28 dst_sel:DWORD dst_unused:UNUSED_PAD src0_sel:DWORD src1_sel:WORD_1
	v_mul_f16_sdwa v147, v86, v28 dst_sel:DWORD dst_unused:UNUSED_PAD src0_sel:DWORD src1_sel:WORD_1
	;; [unrolled: 1-line block ×24, first 2 shown]
	v_fma_f16 v82, v82, v21, -v122
	v_fma_f16 v84, v84, v23, -v126
	v_fmac_f16_e32 v124, v102, v21
	v_fmac_f16_e32 v128, v104, v23
	v_fmac_f16_e32 v130, v106, v22
	v_fma_f16 v87, v87, v22, -v131
	v_fma_f16 v86, v86, v28, -v146
	v_fma_f16 v99, v99, v29, -v148
	v_fmac_f16_e32 v147, v118, v28
	v_fmac_f16_e32 v149, v119, v29
	v_fmac_f16_e32 v150, v121, v27
	v_fma_f16 v101, v101, v27, -v151
	;; [unrolled: 6-line block ×3, first 2 shown]
	v_fma_f16 v89, v89, v16, -v134
	v_fma_f16 v94, v94, v15, -v136
	;; [unrolled: 1-line block ×3, first 2 shown]
	v_fmac_f16_e32 v138, v111, v15
	v_fmac_f16_e32 v135, v110, v16
	;; [unrolled: 1-line block ×3, first 2 shown]
	v_fma_f16 v95, v95, v24, -v137
	v_fma_f16 v97, v97, v26, -v141
	v_fmac_f16_e32 v139, v112, v24
	v_fmac_f16_e32 v143, v114, v26
	;; [unrolled: 1-line block ×3, first 2 shown]
	v_fma_f16 v98, v98, v25, -v145
	v_sub_f16_e32 v87, v91, v87
	v_sub_f16_e32 v102, v108, v130
	;; [unrolled: 1-line block ×21, first 2 shown]
	v_add_f16_e32 v115, v102, v84
	v_fma_f16 v90, v90, 2.0, -v86
	v_fma_f16 v91, v91, 2.0, -v87
	;; [unrolled: 1-line block ×8, first 2 shown]
	v_sub_f16_e32 v118, v88, v105
	v_add_f16_e32 v119, v104, v85
	v_add_f16_e32 v122, v106, v96
	v_fma_f16 v109, v109, 2.0, -v104
	v_fma_f16 v83, v83, 2.0, -v85
	;; [unrolled: 1-line block ×8, first 2 shown]
	v_sub_f16_e32 v121, v89, v107
	v_add_f16_e32 v126, v110, v97
	v_fma_f16 v100, v100, 2.0, -v98
	v_fma_f16 v107, v117, 2.0, -v110
	;; [unrolled: 1-line block ×4, first 2 shown]
	v_sub_f16_e32 v123, v98, v111
	v_sub_f16_e32 v111, v86, v113
	v_add_f16_e32 v99, v112, v99
	v_sub_f16_e32 v101, v90, v101
	v_sub_f16_e32 v120, v103, v120
	;; [unrolled: 1-line block ×4, first 2 shown]
	v_fma_f16 v87, v87, 2.0, -v114
	v_fma_f16 v102, v102, 2.0, -v115
	;; [unrolled: 1-line block ×4, first 2 shown]
	v_sub_f16_e32 v83, v92, v83
	v_sub_f16_e32 v85, v109, v85
	;; [unrolled: 1-line block ×6, first 2 shown]
	v_fma_f16 v89, v89, 2.0, -v121
	v_fma_f16 v106, v106, 2.0, -v122
	;; [unrolled: 1-line block ×4, first 2 shown]
	v_pack_b32_f16 v113, v114, v115
	v_pack_b32_f16 v116, v118, v119
	;; [unrolled: 1-line block ×3, first 2 shown]
	v_fma_f16 v86, v86, 2.0, -v111
	v_fma_f16 v99, v112, 2.0, -v99
	v_pack_b32_f16 v111, v101, v120
	v_pack_b32_f16 v112, v82, v84
	v_fma_f16 v90, v90, 2.0, -v101
	v_fma_f16 v101, v103, 2.0, -v120
	;; [unrolled: 1-line block ×4, first 2 shown]
	v_pack_b32_f16 v117, v121, v122
	v_pack_b32_f16 v124, v123, v126
	;; [unrolled: 1-line block ×5, first 2 shown]
	v_fma_f16 v83, v92, 2.0, -v83
	v_fma_f16 v85, v109, 2.0, -v85
	;; [unrolled: 1-line block ×4, first 2 shown]
	v_pack_b32_f16 v104, v94, v96
	v_fma_f16 v93, v100, 2.0, -v95
	v_fma_f16 v94, v107, 2.0, -v97
	v_pack_b32_f16 v89, v89, v106
	v_pack_b32_f16 v98, v98, v110
	;; [unrolled: 1-line block ×3, first 2 shown]
	ds_write2st64_b32 v48, v113, v116 offset0:32 offset1:34
	ds_write2st64_b32 v48, v117, v124 offset0:36 offset1:38
	;; [unrolled: 1-line block ×5, first 2 shown]
	v_pack_b32_f16 v87, v90, v101
	v_pack_b32_f16 v82, v82, v84
	;; [unrolled: 1-line block ×6, first 2 shown]
	ds_write2st64_b32 v48, v89, v98 offset0:16 offset1:18
	ds_write2st64_b32 v48, v106, v114 offset0:28 offset1:30
	ds_write2st64_b32 v48, v87, v82 offset1:2
	ds_write2st64_b32 v48, v83, v84 offset0:4 offset1:6
	ds_write2st64_b32 v48, v85, v86 offset0:8 offset1:10
	s_waitcnt lgkmcnt(0)
	s_barrier
	buffer_gl0_inv
	s_clause 0x13
	global_load_dword v88, v48, s[6:7]
	global_load_dword v89, v48, s[6:7] offset:512
	global_load_dword v90, v39, s[6:7]
	global_load_dword v91, v38, s[6:7]
	;; [unrolled: 1-line block ×9, first 2 shown]
	global_load_dword v99, v48, s[6:7] offset:1024
	global_load_dword v100, v48, s[6:7] offset:1536
	global_load_dword v101, v41, s[6:7]
	global_load_dword v102, v32, s[6:7]
	;; [unrolled: 1-line block ×7, first 2 shown]
	ds_read2st64_b32 v[31:32], v48 offset1:2
	ds_read2st64_b32 v[33:34], v48 offset0:20 offset1:22
	ds_read2st64_b32 v[35:36], v48 offset0:12 offset1:14
	;; [unrolled: 1-line block ×9, first 2 shown]
	s_mul_i32 s7, s8, 0xffffe400
	s_waitcnt lgkmcnt(9)
	v_lshrrev_b32_e32 v106, 16, v31
	v_lshrrev_b32_e32 v107, 16, v32
	s_waitcnt lgkmcnt(8)
	v_lshrrev_b32_e32 v109, 16, v34
	v_lshrrev_b32_e32 v108, 16, v33
	;; [unrolled: 3-line block ×10, first 2 shown]
	s_waitcnt vmcnt(19)
	v_mul_f16_sdwa v126, v31, v88 dst_sel:DWORD dst_unused:UNUSED_PAD src0_sel:DWORD src1_sel:WORD_1
	v_mul_f16_sdwa v127, v106, v88 dst_sel:DWORD dst_unused:UNUSED_PAD src0_sel:DWORD src1_sel:WORD_1
	s_waitcnt vmcnt(18)
	v_mul_f16_sdwa v128, v107, v89 dst_sel:DWORD dst_unused:UNUSED_PAD src0_sel:DWORD src1_sel:WORD_1
	v_mul_f16_sdwa v129, v32, v89 dst_sel:DWORD dst_unused:UNUSED_PAD src0_sel:DWORD src1_sel:WORD_1
	s_waitcnt vmcnt(17)
	v_mul_f16_sdwa v130, v33, v90 dst_sel:DWORD dst_unused:UNUSED_PAD src0_sel:DWORD src1_sel:WORD_1
	s_waitcnt vmcnt(16)
	v_mul_f16_sdwa v132, v109, v91 dst_sel:DWORD dst_unused:UNUSED_PAD src0_sel:DWORD src1_sel:WORD_1
	v_mul_f16_sdwa v133, v34, v91 dst_sel:DWORD dst_unused:UNUSED_PAD src0_sel:DWORD src1_sel:WORD_1
	;; [unrolled: 1-line block ×3, first 2 shown]
	s_waitcnt vmcnt(15)
	v_mul_f16_sdwa v134, v35, v92 dst_sel:DWORD dst_unused:UNUSED_PAD src0_sel:DWORD src1_sel:WORD_1
	v_mul_f16_sdwa v135, v110, v92 dst_sel:DWORD dst_unused:UNUSED_PAD src0_sel:DWORD src1_sel:WORD_1
	s_waitcnt vmcnt(14)
	v_mul_f16_sdwa v136, v111, v93 dst_sel:DWORD dst_unused:UNUSED_PAD src0_sel:DWORD src1_sel:WORD_1
	v_mul_f16_sdwa v137, v36, v93 dst_sel:DWORD dst_unused:UNUSED_PAD src0_sel:DWORD src1_sel:WORD_1
	;; [unrolled: 3-line block ×6, first 2 shown]
	v_mul_f16_sdwa v146, v41, v96 dst_sel:DWORD dst_unused:UNUSED_PAD src0_sel:DWORD src1_sel:WORD_1
	v_mul_f16_sdwa v147, v116, v96 dst_sel:DWORD dst_unused:UNUSED_PAD src0_sel:DWORD src1_sel:WORD_1
	s_waitcnt vmcnt(6)
	v_mul_f16_sdwa v148, v117, v101 dst_sel:DWORD dst_unused:UNUSED_PAD src0_sel:DWORD src1_sel:WORD_1
	v_mul_f16_sdwa v149, v42, v101 dst_sel:DWORD dst_unused:UNUSED_PAD src0_sel:DWORD src1_sel:WORD_1
	s_waitcnt vmcnt(4)
	;; [unrolled: 3-line block ×3, first 2 shown]
	v_mul_f16_sdwa v152, v119, v44 dst_sel:DWORD dst_unused:UNUSED_PAD src0_sel:DWORD src1_sel:WORD_1
	v_mul_f16_sdwa v153, v74, v44 dst_sel:DWORD dst_unused:UNUSED_PAD src0_sel:DWORD src1_sel:WORD_1
	v_fmac_f16_e32 v126, v106, v88
	v_mul_f16_sdwa v106, v120, v95 dst_sel:DWORD dst_unused:UNUSED_PAD src0_sel:DWORD src1_sel:WORD_1
	v_fma_f16 v31, v31, v88, -v127
	s_waitcnt vmcnt(2)
	v_mul_f16_sdwa v88, v121, v104 dst_sel:DWORD dst_unused:UNUSED_PAD src0_sel:DWORD src1_sel:WORD_1
	v_fma_f16 v32, v32, v89, -v128
	v_mul_f16_sdwa v127, v83, v104 dst_sel:DWORD dst_unused:UNUSED_PAD src0_sel:DWORD src1_sel:WORD_1
	v_mul_f16_sdwa v128, v85, v102 dst_sel:DWORD dst_unused:UNUSED_PAD src0_sel:DWORD src1_sel:WORD_1
	v_fmac_f16_e32 v129, v107, v89
	v_mul_f16_sdwa v89, v122, v102 dst_sel:DWORD dst_unused:UNUSED_PAD src0_sel:DWORD src1_sel:WORD_1
	s_waitcnt vmcnt(1)
	v_mul_f16_sdwa v107, v123, v76 dst_sel:DWORD dst_unused:UNUSED_PAD src0_sel:DWORD src1_sel:WORD_1
	v_fmac_f16_e32 v130, v108, v90
	v_mul_f16_sdwa v108, v84, v76 dst_sel:DWORD dst_unused:UNUSED_PAD src0_sel:DWORD src1_sel:WORD_1
	v_fma_f16 v34, v34, v91, -v132
	s_waitcnt vmcnt(0)
	v_mul_f16_sdwa v132, v125, v105 dst_sel:DWORD dst_unused:UNUSED_PAD src0_sel:DWORD src1_sel:WORD_1
	v_fmac_f16_e32 v133, v109, v91
	v_mul_f16_sdwa v91, v87, v105 dst_sel:DWORD dst_unused:UNUSED_PAD src0_sel:DWORD src1_sel:WORD_1
	v_mul_f16_sdwa v154, v82, v95 dst_sel:DWORD dst_unused:UNUSED_PAD src0_sel:DWORD src1_sel:WORD_1
	v_fma_f16 v33, v33, v90, -v131
	v_mul_f16_sdwa v90, v86, v94 dst_sel:DWORD dst_unused:UNUSED_PAD src0_sel:DWORD src1_sel:WORD_1
	v_mul_f16_sdwa v131, v124, v94 dst_sel:DWORD dst_unused:UNUSED_PAD src0_sel:DWORD src1_sel:WORD_1
	v_fmac_f16_e32 v134, v110, v92
	v_fma_f16 v35, v35, v92, -v135
	v_fma_f16 v36, v36, v93, -v136
	v_fmac_f16_e32 v137, v111, v93
	v_fmac_f16_e32 v138, v112, v97
	v_fma_f16 v37, v37, v97, -v139
	v_fma_f16 v38, v38, v98, -v140
	v_fmac_f16_e32 v141, v113, v98
	;; [unrolled: 4-line block ×5, first 2 shown]
	v_fma_f16 v44, v82, v95, -v106
	v_fma_f16 v82, v83, v104, -v88
	v_fmac_f16_e32 v127, v121, v104
	v_fmac_f16_e32 v128, v122, v102
	v_fma_f16 v83, v85, v102, -v89
	v_fma_f16 v84, v84, v76, -v107
	v_fmac_f16_e32 v108, v123, v76
	v_fma_f16 v85, v87, v105, -v132
	v_fmac_f16_e32 v91, v125, v105
	v_fmac_f16_e32 v154, v120, v95
	;; [unrolled: 1-line block ×3, first 2 shown]
	v_fma_f16 v76, v86, v94, -v131
	v_pack_b32_f16 v31, v31, v126
	v_pack_b32_f16 v32, v32, v129
	;; [unrolled: 1-line block ×20, first 2 shown]
	ds_write2st64_b32 v48, v31, v32 offset1:2
	ds_write2st64_b32 v48, v33, v34 offset0:20 offset1:22
	ds_write2st64_b32 v48, v35, v36 offset0:12 offset1:14
	;; [unrolled: 1-line block ×9, first 2 shown]
	s_waitcnt lgkmcnt(0)
	s_barrier
	buffer_gl0_inv
	ds_read2st64_b32 v[31:32], v48 offset1:2
	ds_read2st64_b32 v[33:34], v48 offset0:20 offset1:22
	ds_read2st64_b32 v[35:36], v48 offset0:8 offset1:10
	;; [unrolled: 1-line block ×9, first 2 shown]
	s_waitcnt lgkmcnt(0)
	s_barrier
	buffer_gl0_inv
	v_pk_add_f16 v33, v31, v33 neg_lo:[0,1] neg_hi:[0,1]
	v_pk_add_f16 v34, v32, v34 neg_lo:[0,1] neg_hi:[0,1]
	;; [unrolled: 1-line block ×10, first 2 shown]
	v_lshrrev_b32_e32 v87, 16, v33
	v_lshrrev_b32_e32 v91, 16, v34
	v_pk_fma_f16 v37, v39, 2.0, v41 op_sel_hi:[1,0,1] neg_lo:[0,0,1] neg_hi:[0,0,1]
	v_pk_fma_f16 v39, v40, 2.0, v42 op_sel_hi:[1,0,1] neg_lo:[0,0,1] neg_hi:[0,0,1]
	v_lshrrev_b32_e32 v40, 16, v44
	v_pk_fma_f16 v74, v74, 2.0, v44 op_sel_hi:[1,0,1] neg_lo:[0,0,1] neg_hi:[0,0,1]
	v_lshrrev_b32_e32 v94, 16, v76
	v_lshrrev_b32_e32 v96, 16, v83
	v_add_f16_sdwa v89, v33, v38 dst_sel:DWORD dst_unused:UNUSED_PAD src0_sel:DWORD src1_sel:WORD_1
	v_pk_fma_f16 v31, v31, 2.0, v33 op_sel_hi:[1,0,1] neg_lo:[0,0,1] neg_hi:[0,0,1]
	v_pk_fma_f16 v36, v36, 2.0, v38 op_sel_hi:[1,0,1] neg_lo:[0,0,1] neg_hi:[0,0,1]
	;; [unrolled: 1-line block ×3, first 2 shown]
	v_add_f16_sdwa v97, v83, v86 dst_sel:DWORD dst_unused:UNUSED_PAD src0_sel:DWORD src1_sel:WORD_1
	v_sub_f16_e32 v38, v87, v38
	v_add_f16_sdwa v90, v34, v41 dst_sel:DWORD dst_unused:UNUSED_PAD src0_sel:DWORD src1_sel:WORD_1
	v_sub_f16_e32 v99, v91, v41
	;; [unrolled: 2-line block ×3, first 2 shown]
	v_pk_fma_f16 v75, v75, 2.0, v76 op_sel_hi:[1,0,1] neg_lo:[0,0,1] neg_hi:[0,0,1]
	v_add_f16_sdwa v93, v76, v82 dst_sel:DWORD dst_unused:UNUSED_PAD src0_sel:DWORD src1_sel:WORD_1
	v_pk_fma_f16 v95, v35, 2.0, v83 op_sel_hi:[1,0,1] neg_lo:[0,0,1] neg_hi:[0,0,1]
	v_pk_fma_f16 v35, v84, 2.0, v82 op_sel_hi:[1,0,1] neg_lo:[0,0,1] neg_hi:[0,0,1]
	v_pk_add_f16 v41, v74, v39 neg_lo:[0,1] neg_hi:[0,1]
	v_sub_f16_e32 v82, v94, v82
	v_pk_fma_f16 v85, v85, 2.0, v86 op_sel_hi:[1,0,1] neg_lo:[0,0,1] neg_hi:[0,0,1]
	v_sub_f16_e32 v86, v96, v86
	v_fma_f16 v98, v33, 2.0, -v89
	v_pk_add_f16 v33, v31, v36 neg_lo:[0,1] neg_hi:[0,1]
	v_pk_add_f16 v37, v32, v37 neg_lo:[0,1] neg_hi:[0,1]
	v_fma_f16 v100, v83, 2.0, -v97
	v_fma_f16 v83, v87, 2.0, -v38
	;; [unrolled: 1-line block ×7, first 2 shown]
	v_pk_add_f16 v84, v75, v35 neg_lo:[0,1] neg_hi:[0,1]
	v_pk_fma_f16 v39, v74, 2.0, v41 op_sel_hi:[1,0,1] neg_lo:[0,0,1] neg_hi:[0,0,1]
	v_fma_f16 v74, v94, 2.0, -v82
	v_pk_add_f16 v88, v95, v85 neg_lo:[0,1] neg_hi:[0,1]
	v_pack_b32_f16 v34, v89, v38
	v_pack_b32_f16 v38, v90, v99
	v_fma_f16 v90, v96, 2.0, -v86
	v_pk_fma_f16 v31, v31, 2.0, v33 op_sel_hi:[1,0,1] neg_lo:[0,0,1] neg_hi:[0,0,1]
	v_pk_fma_f16 v35, v32, 2.0, v37 op_sel_hi:[1,0,1] neg_lo:[0,0,1] neg_hi:[0,0,1]
	v_pack_b32_f16 v32, v98, v83
	v_pack_b32_f16 v36, v36, v87
	;; [unrolled: 1-line block ×5, first 2 shown]
	v_pk_fma_f16 v82, v75, 2.0, v84 op_sel_hi:[1,0,1] neg_lo:[0,0,1] neg_hi:[0,0,1]
	v_pack_b32_f16 v83, v76, v74
	v_pack_b32_f16 v89, v97, v86
	v_pk_fma_f16 v86, v95, 2.0, v88 op_sel_hi:[1,0,1] neg_lo:[0,0,1] neg_hi:[0,0,1]
	v_pack_b32_f16 v87, v100, v90
	ds_write_b128 v43, v[31:34]
	ds_write_b128 v43, v[35:38] offset:2048
	ds_write_b128 v43, v[39:42] offset:4096
	;; [unrolled: 1-line block ×4, first 2 shown]
	s_waitcnt lgkmcnt(0)
	s_barrier
	buffer_gl0_inv
	ds_read2st64_b32 v[31:32], v48 offset0:20 offset1:22
	ds_read2st64_b32 v[33:34], v48 offset0:12 offset1:14
	;; [unrolled: 1-line block ×8, first 2 shown]
	ds_read2st64_b32 v[82:83], v48 offset1:2
	ds_read2st64_b32 v[84:85], v48 offset0:4 offset1:6
	s_waitcnt lgkmcnt(0)
	s_barrier
	buffer_gl0_inv
	v_lshrrev_b32_e32 v76, 16, v31
	v_lshrrev_b32_e32 v90, 16, v34
	v_mul_f16_sdwa v92, v9, v34 dst_sel:DWORD dst_unused:UNUSED_PAD src0_sel:WORD_1 src1_sel:DWORD
	v_lshrrev_b32_e32 v94, 16, v36
	v_mul_f16_sdwa v96, v11, v36 dst_sel:DWORD dst_unused:UNUSED_PAD src0_sel:WORD_1 src1_sel:DWORD
	v_lshrrev_b32_e32 v98, 16, v38
	v_mul_f16_sdwa v100, v10, v38 dst_sel:DWORD dst_unused:UNUSED_PAD src0_sel:WORD_1 src1_sel:DWORD
	v_lshrrev_b32_e32 v105, 16, v42
	v_lshrrev_b32_e32 v113, 16, v75
	v_lshrrev_b32_e32 v86, 16, v32
	v_lshrrev_b32_e32 v87, 16, v33
	v_lshrrev_b32_e32 v93, 16, v35
	v_lshrrev_b32_e32 v97, 16, v37
	v_mul_f16_sdwa v89, v10, v32 dst_sel:DWORD dst_unused:UNUSED_PAD src0_sel:WORD_1 src1_sel:DWORD
	v_mul_f16_sdwa v91, v9, v33 dst_sel:DWORD dst_unused:UNUSED_PAD src0_sel:WORD_1 src1_sel:DWORD
	;; [unrolled: 1-line block ×3, first 2 shown]
	v_lshrrev_b32_e32 v101, 16, v39
	v_lshrrev_b32_e32 v102, 16, v40
	v_mul_f16_sdwa v103, v9, v39 dst_sel:DWORD dst_unused:UNUSED_PAD src0_sel:WORD_1 src1_sel:DWORD
	v_lshrrev_b32_e32 v106, 16, v41
	v_lshrrev_b32_e32 v109, 16, v43
	;; [unrolled: 1-line block ×3, first 2 shown]
	v_mul_f16_sdwa v111, v11, v43 dst_sel:DWORD dst_unused:UNUSED_PAD src0_sel:WORD_1 src1_sel:DWORD
	v_mul_f16_sdwa v88, v10, v31 dst_sel:DWORD dst_unused:UNUSED_PAD src0_sel:WORD_1 src1_sel:DWORD
	;; [unrolled: 1-line block ×9, first 2 shown]
	v_fma_f16 v90, v9, v90, -v92
	v_fma_f16 v92, v11, v94, -v96
	;; [unrolled: 1-line block ×3, first 2 shown]
	v_mul_f16_sdwa v100, v9, v113 dst_sel:DWORD dst_unused:UNUSED_PAD src0_sel:WORD_1 src1_sel:DWORD
	v_mul_f16_sdwa v121, v10, v86 dst_sel:DWORD dst_unused:UNUSED_PAD src0_sel:WORD_1 src1_sel:DWORD
	;; [unrolled: 1-line block ×8, first 2 shown]
	v_lshrrev_b32_e32 v116, 16, v83
	v_mul_f16_sdwa v127, v10, v98 dst_sel:DWORD dst_unused:UNUSED_PAD src0_sel:WORD_1 src1_sel:DWORD
	v_mul_f16_sdwa v128, v9, v101 dst_sel:DWORD dst_unused:UNUSED_PAD src0_sel:WORD_1 src1_sel:DWORD
	;; [unrolled: 1-line block ×6, first 2 shown]
	v_fma_f16 v87, v9, v87, -v91
	v_fma_f16 v86, v10, v86, -v89
	;; [unrolled: 1-line block ×5, first 2 shown]
	v_lshrrev_b32_e32 v115, 16, v82
	v_fma_f16 v76, v10, v76, -v88
	v_fma_f16 v88, v11, v105, -v107
	;; [unrolled: 1-line block ×4, first 2 shown]
	v_fmac_f16_e32 v120, v10, v31
	v_fmac_f16_e32 v130, v11, v42
	;; [unrolled: 1-line block ×6, first 2 shown]
	v_lshrrev_b32_e32 v117, 16, v84
	v_fmac_f16_e32 v123, v9, v34
	v_fmac_f16_e32 v125, v11, v36
	;; [unrolled: 1-line block ×3, first 2 shown]
	v_lshrrev_b32_e32 v118, 16, v85
	v_lshrrev_b32_e32 v119, 16, v74
	v_fma_f16 v96, v9, v102, -v104
	v_fma_f16 v97, v10, v106, -v108
	;; [unrolled: 1-line block ×3, first 2 shown]
	v_fmac_f16_e32 v127, v10, v38
	v_fmac_f16_e32 v128, v9, v39
	;; [unrolled: 1-line block ×6, first 2 shown]
	v_sub_f16_e32 v11, v116, v86
	v_sub_f16_e32 v31, v87, v89
	;; [unrolled: 1-line block ×16, first 2 shown]
	v_fma_f16 v44, v116, 2.0, -v11
	v_fma_f16 v75, v87, 2.0, -v31
	;; [unrolled: 1-line block ×3, first 2 shown]
	v_sub_f16_e32 v89, v85, v127
	v_sub_f16_e32 v90, v128, v132
	v_fma_f16 v92, v93, 2.0, -v35
	v_sub_f16_e32 v93, v74, v131
	v_sub_f16_e32 v94, v129, v133
	v_fma_f16 v38, v115, 2.0, -v9
	v_fma_f16 v40, v99, 2.0, -v10
	;; [unrolled: 1-line block ×12, first 2 shown]
	v_add_f16_e32 v10, v41, v10
	v_sub_f16_e32 v39, v9, v39
	v_sub_f16_e32 v75, v44, v75
	v_add_f16_e32 v31, v42, v31
	v_sub_f16_e32 v43, v11, v43
	v_add_f16_e32 v33, v88, v33
	v_sub_f16_e32 v86, v32, v86
	v_fma_f16 v85, v85, 2.0, -v89
	v_fma_f16 v100, v128, 2.0, -v90
	;; [unrolled: 1-line block ×4, first 2 shown]
	v_add_f16_e32 v35, v89, v35
	v_sub_f16_e32 v90, v34, v90
	v_sub_f16_e32 v40, v38, v40
	;; [unrolled: 1-line block ×3, first 2 shown]
	v_add_f16_e32 v36, v93, v36
	v_sub_f16_e32 v94, v37, v94
	v_sub_f16_e32 v98, v83, v98
	;; [unrolled: 1-line block ×6, first 2 shown]
	v_pack_b32_f16 v102, v10, v39
	v_pack_b32_f16 v103, v31, v43
	;; [unrolled: 1-line block ×3, first 2 shown]
	v_sub_f16_e32 v100, v85, v100
	v_fma_f16 v10, v41, 2.0, -v10
	v_fma_f16 v9, v9, 2.0, -v39
	;; [unrolled: 1-line block ×7, first 2 shown]
	v_sub_f16_e32 v44, v74, v101
	v_pack_b32_f16 v105, v35, v90
	v_fma_f16 v35, v89, 2.0, -v35
	v_fma_f16 v34, v34, 2.0, -v90
	;; [unrolled: 1-line block ×12, first 2 shown]
	v_pack_b32_f16 v9, v10, v9
	v_pack_b32_f16 v10, v31, v11
	;; [unrolled: 1-line block ×3, first 2 shown]
	v_fma_f16 v33, v74, 2.0, -v44
	v_pack_b32_f16 v36, v36, v94
	v_pack_b32_f16 v40, v97, v40
	;; [unrolled: 1-line block ×13, first 2 shown]
	ds_write2_b32 v68, v40, v102 offset0:8 offset1:12
	ds_write2_b32 v69, v75, v103 offset0:8 offset1:12
	;; [unrolled: 1-line block ×5, first 2 shown]
	ds_write2_b32 v68, v35, v9 offset1:4
	ds_write2_b32 v69, v37, v10 offset1:4
	ds_write2_b32 v70, v38, v11 offset1:4
	ds_write2_b32 v71, v39, v31 offset1:4
	ds_write2_b32 v72, v33, v32 offset1:4
	s_waitcnt lgkmcnt(0)
	s_barrier
	buffer_gl0_inv
	ds_read2st64_b32 v[9:10], v48 offset0:20 offset1:22
	ds_read2st64_b32 v[31:32], v48 offset0:12 offset1:14
	ds_read2st64_b32 v[33:34], v48 offset0:32 offset1:34
	ds_read2st64_b32 v[35:36], v48 offset0:24 offset1:26
	ds_read2st64_b32 v[37:38], v48 offset0:16 offset1:18
	ds_read2st64_b32 v[39:40], v48 offset0:28 offset1:30
	ds_read2st64_b32 v[41:42], v48 offset0:36 offset1:38
	ds_read2st64_b32 v[43:44], v48 offset0:8 offset1:10
	ds_read2st64_b32 v[68:69], v48 offset1:2
	ds_read2st64_b32 v[70:71], v48 offset0:4 offset1:6
	s_waitcnt lgkmcnt(0)
	s_barrier
	buffer_gl0_inv
	v_lshrrev_b32_e32 v11, 16, v9
	v_lshrrev_b32_e32 v76, 16, v32
	v_mul_f16_sdwa v86, v12, v32 dst_sel:DWORD dst_unused:UNUSED_PAD src0_sel:WORD_1 src1_sel:DWORD
	v_lshrrev_b32_e32 v90, 16, v36
	v_mul_f16_sdwa v92, v13, v36 dst_sel:DWORD dst_unused:UNUSED_PAD src0_sel:WORD_1 src1_sel:DWORD
	v_lshrrev_b32_e32 v97, 16, v40
	v_lshrrev_b32_e32 v72, 16, v31
	;; [unrolled: 1-line block ×12, first 2 shown]
	v_mul_f16_sdwa v83, v13, v9 dst_sel:DWORD dst_unused:UNUSED_PAD src0_sel:WORD_1 src1_sel:DWORD
	v_mul_f16_sdwa v84, v12, v31 dst_sel:DWORD dst_unused:UNUSED_PAD src0_sel:WORD_1 src1_sel:DWORD
	;; [unrolled: 1-line block ×8, first 2 shown]
	v_fma_f16 v76, v12, v76, -v86
	v_fma_f16 v86, v13, v90, -v92
	v_mul_f16_sdwa v92, v12, v105 dst_sel:DWORD dst_unused:UNUSED_PAD src0_sel:WORD_1 src1_sel:DWORD
	v_mul_f16_sdwa v85, v13, v10 dst_sel:DWORD dst_unused:UNUSED_PAD src0_sel:WORD_1 src1_sel:DWORD
	v_mul_f16_sdwa v87, v14, v33 dst_sel:DWORD dst_unused:UNUSED_PAD src0_sel:WORD_1 src1_sel:DWORD
	v_mul_f16_sdwa v95, v12, v37 dst_sel:DWORD dst_unused:UNUSED_PAD src0_sel:WORD_1 src1_sel:DWORD
	v_mul_f16_sdwa v103, v14, v41 dst_sel:DWORD dst_unused:UNUSED_PAD src0_sel:WORD_1 src1_sel:DWORD
	v_mul_f16_sdwa v113, v13, v74 dst_sel:DWORD dst_unused:UNUSED_PAD src0_sel:WORD_1 src1_sel:DWORD
	v_mul_f16_sdwa v114, v12, v72 dst_sel:DWORD dst_unused:UNUSED_PAD src0_sel:WORD_1 src1_sel:DWORD
	v_mul_f16_sdwa v116, v14, v75 dst_sel:DWORD dst_unused:UNUSED_PAD src0_sel:WORD_1 src1_sel:DWORD
	v_mul_f16_sdwa v119, v13, v90 dst_sel:DWORD dst_unused:UNUSED_PAD src0_sel:WORD_1 src1_sel:DWORD
	v_mul_f16_sdwa v88, v14, v34 dst_sel:DWORD dst_unused:UNUSED_PAD src0_sel:WORD_1 src1_sel:DWORD
	v_mul_f16_sdwa v117, v14, v82 dst_sel:DWORD dst_unused:UNUSED_PAD src0_sel:WORD_1 src1_sel:DWORD
	v_mul_f16_sdwa v118, v13, v89 dst_sel:DWORD dst_unused:UNUSED_PAD src0_sel:WORD_1 src1_sel:DWORD
	v_mul_f16_sdwa v96, v12, v38 dst_sel:DWORD dst_unused:UNUSED_PAD src0_sel:WORD_1 src1_sel:DWORD
	v_mul_f16_sdwa v100, v13, v39 dst_sel:DWORD dst_unused:UNUSED_PAD src0_sel:WORD_1 src1_sel:DWORD
	v_mul_f16_sdwa v104, v14, v42 dst_sel:DWORD dst_unused:UNUSED_PAD src0_sel:WORD_1 src1_sel:DWORD
	v_mul_f16_sdwa v120, v12, v93 dst_sel:DWORD dst_unused:UNUSED_PAD src0_sel:WORD_1 src1_sel:DWORD
	v_mul_f16_sdwa v121, v12, v94 dst_sel:DWORD dst_unused:UNUSED_PAD src0_sel:WORD_1 src1_sel:DWORD
	v_mul_f16_sdwa v123, v13, v98 dst_sel:DWORD dst_unused:UNUSED_PAD src0_sel:WORD_1 src1_sel:DWORD
	v_mul_f16_sdwa v124, v14, v101 dst_sel:DWORD dst_unused:UNUSED_PAD src0_sel:WORD_1 src1_sel:DWORD
	v_mul_f16_sdwa v125, v14, v102 dst_sel:DWORD dst_unused:UNUSED_PAD src0_sel:WORD_1 src1_sel:DWORD
	v_lshrrev_b32_e32 v107, 16, v68
	v_fma_f16 v11, v13, v11, -v83
	v_fma_f16 v83, v14, v97, -v99
	;; [unrolled: 1-line block ×5, first 2 shown]
	v_fmac_f16_e32 v112, v13, v9
	v_fmac_f16_e32 v122, v14, v40
	;; [unrolled: 1-line block ×3, first 2 shown]
	v_lshrrev_b32_e32 v108, 16, v69
	v_fma_f16 v74, v13, v74, -v85
	v_fma_f16 v75, v14, v75, -v87
	;; [unrolled: 1-line block ×4, first 2 shown]
	v_fmac_f16_e32 v113, v13, v10
	v_fmac_f16_e32 v114, v12, v31
	;; [unrolled: 1-line block ×4, first 2 shown]
	v_lshrrev_b32_e32 v109, 16, v70
	v_fma_f16 v82, v14, v82, -v88
	v_fmac_f16_e32 v115, v12, v32
	v_fmac_f16_e32 v117, v14, v34
	;; [unrolled: 1-line block ×3, first 2 shown]
	v_lshrrev_b32_e32 v110, 16, v71
	v_lshrrev_b32_e32 v111, 16, v43
	v_fma_f16 v88, v12, v94, -v96
	v_fma_f16 v89, v13, v98, -v100
	;; [unrolled: 1-line block ×3, first 2 shown]
	v_fmac_f16_e32 v120, v12, v37
	v_fmac_f16_e32 v121, v12, v38
	;; [unrolled: 1-line block ×5, first 2 shown]
	v_sub_f16_e32 v9, v107, v11
	v_sub_f16_e32 v10, v91, v83
	;; [unrolled: 1-line block ×20, first 2 shown]
	v_fma_f16 v35, v107, 2.0, -v9
	v_fma_f16 v37, v91, 2.0, -v10
	;; [unrolled: 1-line block ×7, first 2 shown]
	v_add_f16_e32 v10, v38, v10
	v_sub_f16_e32 v36, v9, v36
	v_fma_f16 v69, v69, 2.0, -v39
	v_fma_f16 v90, v114, 2.0, -v44
	v_add_f16_e32 v11, v39, v11
	v_sub_f16_e32 v44, v12, v44
	v_add_f16_e32 v31, v41, v31
	v_fma_f16 v76, v76, 2.0, -v13
	v_fma_f16 v82, v109, 2.0, -v14
	;; [unrolled: 1-line block ×4, first 2 shown]
	v_add_f16_e32 v13, v40, v13
	v_sub_f16_e32 v75, v14, v75
	v_fma_f16 v85, v110, 2.0, -v32
	v_fma_f16 v87, v88, 2.0, -v33
	;; [unrolled: 1-line block ×6, first 2 shown]
	v_sub_f16_e32 v83, v32, v83
	v_fma_f16 v93, v121, 2.0, -v86
	v_add_f16_e32 v33, v42, v33
	v_sub_f16_e32 v86, v34, v86
	v_sub_f16_e32 v37, v35, v37
	;; [unrolled: 1-line block ×4, first 2 shown]
	v_pack_b32_f16 v94, v10, v36
	v_fma_f16 v10, v38, 2.0, -v10
	v_fma_f16 v9, v9, 2.0, -v36
	;; [unrolled: 1-line block ×5, first 2 shown]
	v_sub_f16_e32 v41, v69, v90
	v_sub_f16_e32 v76, v82, v76
	v_pack_b32_f16 v11, v11, v44
	v_fma_f16 v38, v40, 2.0, -v13
	v_fma_f16 v14, v14, 2.0, -v75
	v_sub_f16_e32 v44, v70, v91
	v_sub_f16_e32 v84, v85, v84
	;; [unrolled: 1-line block ×3, first 2 shown]
	v_pack_b32_f16 v13, v13, v75
	v_fma_f16 v32, v32, 2.0, -v83
	v_pack_b32_f16 v31, v31, v83
	v_fma_f16 v40, v42, 2.0, -v33
	v_fma_f16 v34, v34, 2.0, -v86
	v_sub_f16_e32 v75, v71, v92
	v_sub_f16_e32 v83, v43, v93
	v_fma_f16 v35, v35, 2.0, -v37
	v_fma_f16 v68, v68, 2.0, -v89
	;; [unrolled: 1-line block ×3, first 2 shown]
	v_pack_b32_f16 v9, v10, v9
	v_pack_b32_f16 v10, v36, v12
	v_fma_f16 v12, v69, 2.0, -v41
	v_fma_f16 v74, v82, 2.0, -v76
	v_pack_b32_f16 v36, v41, v72
	v_pack_b32_f16 v14, v38, v14
	v_fma_f16 v38, v70, 2.0, -v44
	v_fma_f16 v82, v85, 2.0, -v84
	;; [unrolled: 1-line block ×3, first 2 shown]
	v_pack_b32_f16 v41, v44, v76
	v_pack_b32_f16 v32, v39, v32
	v_fma_f16 v39, v71, 2.0, -v75
	v_pack_b32_f16 v44, v75, v84
	v_pack_b32_f16 v34, v40, v34
	v_fma_f16 v40, v43, 2.0, -v83
	v_pack_b32_f16 v33, v33, v86
	v_pack_b32_f16 v37, v89, v37
	;; [unrolled: 1-line block ×5, first 2 shown]
	ds_write2_b32 v78, v36, v11 offset0:32 offset1:48
	v_pack_b32_f16 v11, v38, v74
	ds_write2_b32 v79, v41, v13 offset0:32 offset1:48
	v_pack_b32_f16 v13, v39, v82
	;; [unrolled: 2-line block ×3, first 2 shown]
	ds_write2_b32 v77, v37, v94 offset0:32 offset1:48
	ds_write2_b32 v81, v43, v33 offset0:32 offset1:48
	ds_write2_b32 v77, v35, v9 offset1:16
	ds_write2_b32 v78, v12, v10 offset1:16
	;; [unrolled: 1-line block ×5, first 2 shown]
	s_waitcnt lgkmcnt(0)
	s_barrier
	buffer_gl0_inv
	ds_read2st64_b32 v[9:10], v48 offset0:4 offset1:6
	ds_read2st64_b32 v[11:12], v48 offset0:8 offset1:10
	;; [unrolled: 1-line block ×9, first 2 shown]
	ds_read2st64_b32 v[43:44], v48 offset1:2
	s_waitcnt lgkmcnt(0)
	s_barrier
	buffer_gl0_inv
	v_lshrrev_b32_e32 v68, 16, v9
	v_lshrrev_b32_e32 v69, 16, v11
	;; [unrolled: 1-line block ×8, first 2 shown]
	v_mul_f16_sdwa v77, v1, v9 dst_sel:DWORD dst_unused:UNUSED_PAD src0_sel:WORD_1 src1_sel:DWORD
	v_mul_f16_sdwa v78, v2, v11 dst_sel:DWORD dst_unused:UNUSED_PAD src0_sel:WORD_1 src1_sel:DWORD
	;; [unrolled: 1-line block ×8, first 2 shown]
	v_lshrrev_b32_e32 v85, 16, v33
	v_lshrrev_b32_e32 v86, 16, v35
	;; [unrolled: 1-line block ×4, first 2 shown]
	v_mul_f16_sdwa v89, v5, v33 dst_sel:DWORD dst_unused:UNUSED_PAD src0_sel:WORD_1 src1_sel:DWORD
	v_mul_f16_sdwa v90, v6, v35 dst_sel:DWORD dst_unused:UNUSED_PAD src0_sel:WORD_1 src1_sel:DWORD
	;; [unrolled: 1-line block ×4, first 2 shown]
	v_lshrrev_b32_e32 v93, 16, v37
	v_lshrrev_b32_e32 v94, 16, v38
	v_mul_f16_sdwa v95, v7, v37 dst_sel:DWORD dst_unused:UNUSED_PAD src0_sel:WORD_1 src1_sel:DWORD
	v_mul_f16_sdwa v96, v7, v38 dst_sel:DWORD dst_unused:UNUSED_PAD src0_sel:WORD_1 src1_sel:DWORD
	v_lshrrev_b32_e32 v97, 16, v39
	v_lshrrev_b32_e32 v98, 16, v40
	v_mul_f16_sdwa v99, v8, v39 dst_sel:DWORD dst_unused:UNUSED_PAD src0_sel:WORD_1 src1_sel:DWORD
	v_mul_f16_sdwa v100, v8, v40 dst_sel:DWORD dst_unused:UNUSED_PAD src0_sel:WORD_1 src1_sel:DWORD
	;; [unrolled: 4-line block ×4, first 2 shown]
	v_mul_f16_sdwa v109, v2, v69 dst_sel:DWORD dst_unused:UNUSED_PAD src0_sel:WORD_1 src1_sel:DWORD
	v_mul_f16_sdwa v110, v2, v74 dst_sel:DWORD dst_unused:UNUSED_PAD src0_sel:WORD_1 src1_sel:DWORD
	;; [unrolled: 1-line block ×4, first 2 shown]
	v_fma_f16 v68, v1, v68, -v77
	v_mul_f16_sdwa v77, v4, v71 dst_sel:DWORD dst_unused:UNUSED_PAD src0_sel:WORD_1 src1_sel:DWORD
	v_mul_f16_sdwa v113, v4, v76 dst_sel:DWORD dst_unused:UNUSED_PAD src0_sel:WORD_1 src1_sel:DWORD
	v_fma_f16 v69, v2, v69, -v78
	v_fma_f16 v70, v3, v70, -v79
	;; [unrolled: 1-line block ×7, first 2 shown]
	v_mul_f16_sdwa v78, v5, v85 dst_sel:DWORD dst_unused:UNUSED_PAD src0_sel:WORD_1 src1_sel:DWORD
	v_mul_f16_sdwa v79, v5, v87 dst_sel:DWORD dst_unused:UNUSED_PAD src0_sel:WORD_1 src1_sel:DWORD
	;; [unrolled: 1-line block ×8, first 2 shown]
	v_fma_f16 v85, v5, v85, -v89
	v_fma_f16 v86, v6, v86, -v90
	;; [unrolled: 1-line block ×8, first 2 shown]
	v_mul_f16_sdwa v93, v66, v101 dst_sel:DWORD dst_unused:UNUSED_PAD src0_sel:WORD_1 src1_sel:DWORD
	v_mul_f16_sdwa v94, v66, v102 dst_sel:DWORD dst_unused:UNUSED_PAD src0_sel:WORD_1 src1_sel:DWORD
	v_fma_f16 v95, v66, v101, -v103
	v_fma_f16 v96, v66, v102, -v104
	v_fmac_f16_e32 v107, v1, v9
	v_fmac_f16_e32 v108, v1, v10
	;; [unrolled: 1-line block ×18, first 2 shown]
	v_add_f16_e32 v1, v87, v91
	v_add_f16_e32 v2, v75, v96
	;; [unrolled: 1-line block ×3, first 2 shown]
	v_sub_f16_e32 v4, v87, v75
	v_sub_f16_e32 v5, v91, v96
	;; [unrolled: 1-line block ×6, first 2 shown]
	v_add_f16_e32 v12, v71, v86
	v_add_f16_e32 v13, v69, v90
	;; [unrolled: 1-line block ×3, first 2 shown]
	v_sub_f16_e32 v31, v71, v69
	v_sub_f16_e32 v32, v86, v90
	;; [unrolled: 1-line block ×4, first 2 shown]
	v_add_f16_e32 v35, v85, v89
	v_add_f16_e32 v36, v70, v95
	;; [unrolled: 1-line block ×3, first 2 shown]
	v_sub_f16_e32 v38, v85, v70
	v_sub_f16_e32 v39, v89, v95
	;; [unrolled: 1-line block ×4, first 2 shown]
	v_add_f16_e32 v42, v105, v74
	v_add_f16_e32 v66, v76, v88
	v_sub_f16_e32 v97, v76, v74
	v_add_f16_e32 v74, v74, v92
	v_sub_f16_e32 v98, v88, v92
	v_sub_f16_e32 v75, v75, v87
	;; [unrolled: 1-line block ×7, first 2 shown]
	v_fma_f16 v1, -0.5, v1, v72
	v_fmac_f16_e32 v72, -0.5, v2
	v_add_f16_e32 v2, v4, v5
	v_add_f16_e32 v4, v113, v81
	;; [unrolled: 1-line block ×8, first 2 shown]
	v_fma_f16 v11, -0.5, v12, v106
	v_fmac_f16_e32 v106, -0.5, v13
	v_add_f16_e32 v12, v31, v32
	v_add_f16_e32 v13, v33, v34
	v_fma_f16 v31, -0.5, v35, v68
	v_fmac_f16_e32 v68, -0.5, v36
	v_add_f16_e32 v32, v38, v39
	v_add_f16_e32 v33, v40, v41
	;; [unrolled: 1-line block ×3, first 2 shown]
	v_fma_f16 v35, -0.5, v66, v105
	v_fmac_f16_e32 v105, -0.5, v74
	v_add_f16_e32 v36, v97, v98
	v_add_f16_e32 v3, v3, v87
	;; [unrolled: 1-line block ×3, first 2 shown]
	v_sub_f16_e32 v39, v109, v77
	v_sub_f16_e32 v40, v84, v80
	v_sub_f16_e32 v41, v77, v109
	v_sub_f16_e32 v42, v80, v84
	v_add_f16_e32 v14, v14, v71
	v_sub_f16_e32 v66, v111, v78
	v_sub_f16_e32 v71, v93, v82
	v_add_f16_e32 v74, v78, v82
	v_add_f16_e32 v75, v111, v93
	;; [unrolled: 1-line block ×3, first 2 shown]
	v_sub_f16_e32 v87, v78, v111
	v_sub_f16_e32 v97, v82, v93
	v_add_f16_e32 v37, v37, v85
	v_sub_f16_e32 v85, v110, v113
	v_sub_f16_e32 v98, v114, v81
	;; [unrolled: 1-line block ×7, first 2 shown]
	v_add_f16_e32 v115, v79, v83
	v_add_f16_e32 v116, v112, v94
	v_sub_f16_e32 v120, v79, v83
	v_sub_f16_e32 v126, v78, v82
	;; [unrolled: 1-line block ×3, first 2 shown]
	v_add_f16_e32 v122, v77, v80
	v_sub_f16_e32 v70, v70, v95
	v_sub_f16_e32 v118, v79, v112
	;; [unrolled: 1-line block ×3, first 2 shown]
	v_fma_f16 v4, -0.5, v4, v44
	v_fmac_f16_e32 v44, -0.5, v5
	v_add_f16_e32 v39, v39, v40
	v_add_f16_e32 v40, v41, v42
	;; [unrolled: 1-line block ×4, first 2 shown]
	v_fma_f16 v42, -0.5, v74, v107
	v_add_f16_e32 v66, v87, v97
	v_add_f16_e32 v37, v37, v89
	;; [unrolled: 1-line block ×5, first 2 shown]
	v_fmamk_f16 v79, v109, 0x3b9c, v11
	v_fmac_f16_e32 v11, 0xbb9c, v109
	v_fmamk_f16 v85, v125, 0xbb9c, v106
	v_fmac_f16_e32 v106, 0x3b9c, v125
	v_add_f16_e32 v76, v76, v78
	v_fmamk_f16 v78, v111, 0x3b9c, v31
	v_fmac_f16_e32 v31, 0xbb9c, v111
	v_add_f16_e32 v87, v102, v113
	v_sub_f16_e32 v127, v113, v81
	v_sub_f16_e32 v110, v110, v114
	v_add_f16_e32 v5, v103, v104
	v_fma_f16 v103, -0.5, v115, v108
	v_fmac_f16_e32 v108, -0.5, v116
	v_fmamk_f16 v115, v120, 0xbb9c, v72
	v_fmac_f16_e32 v72, 0x3b9c, v120
	v_fmac_f16_e32 v107, -0.5, v75
	v_fmamk_f16 v86, v126, 0xbb9c, v68
	v_fmac_f16_e32 v68, 0x3b9c, v126
	v_sub_f16_e32 v69, v69, v90
	v_fma_f16 v116, -0.5, v122, v43
	v_add_f16_e32 v34, v34, v88
	v_add_f16_e32 v3, v3, v91
	v_fmamk_f16 v91, v121, 0x3b9c, v1
	v_fmac_f16_e32 v1, 0xbb9c, v121
	v_sub_f16_e32 v119, v83, v94
	v_sub_f16_e32 v112, v94, v83
	v_fma_f16 v43, -0.5, v123, v43
	v_fmamk_f16 v97, v6, 0x3b9c, v44
	v_fmac_f16_e32 v44, 0xbb9c, v6
	v_add_f16_e32 v77, v77, v80
	v_add_f16_e32 v14, v14, v90
	v_fmac_f16_e32 v79, 0x38b4, v125
	v_fmac_f16_e32 v11, 0xb8b4, v125
	;; [unrolled: 1-line block ×4, first 2 shown]
	v_add_f16_e32 v76, v76, v82
	v_add_f16_e32 v37, v37, v95
	v_fmac_f16_e32 v78, 0x38b4, v126
	v_fmac_f16_e32 v31, 0xb8b4, v126
	v_add_f16_e32 v80, v87, v81
	v_add_f16_e32 v74, v74, v83
	v_fmamk_f16 v83, v70, 0xbb9c, v42
	v_fmamk_f16 v90, v8, 0xbb9c, v4
	v_fmac_f16_e32 v4, 0x3b9c, v8
	v_fmamk_f16 v88, v110, 0x3b9c, v35
	v_fmac_f16_e32 v35, 0xbb9c, v110
	;; [unrolled: 2-line block ×4, first 2 shown]
	v_fmac_f16_e32 v72, 0xb8b4, v121
	v_fmac_f16_e32 v86, 0x38b4, v111
	;; [unrolled: 1-line block ×3, first 2 shown]
	v_fmamk_f16 v87, v101, 0x3b9c, v107
	v_fmac_f16_e32 v107, 0xbb9c, v101
	v_fmac_f16_e32 v42, 0x3b9c, v70
	v_add_f16_e32 v34, v34, v92
	v_fmac_f16_e32 v91, 0x38b4, v120
	v_fmac_f16_e32 v1, 0xb8b4, v120
	v_fmamk_f16 v81, v69, 0xbb9c, v116
	v_fmac_f16_e32 v116, 0x3b9c, v69
	v_fmamk_f16 v92, v9, 0xbb9c, v103
	v_fmac_f16_e32 v103, 0x3b9c, v9
	v_fmac_f16_e32 v115, 0x38b4, v121
	v_fmamk_f16 v82, v100, 0x3b9c, v43
	v_fmac_f16_e32 v43, 0xbb9c, v100
	v_fmac_f16_e32 v44, 0x38b4, v8
	v_add_f16_e32 v77, v77, v84
	v_fmac_f16_e32 v79, 0x34f2, v10
	v_fmac_f16_e32 v11, 0x34f2, v10
	;; [unrolled: 1-line block ×4, first 2 shown]
	v_add_f16_e32 v10, v76, v93
	v_fmac_f16_e32 v83, 0xb8b4, v101
	v_fmac_f16_e32 v78, 0x34f2, v13
	;; [unrolled: 1-line block ×3, first 2 shown]
	v_add_f16_e32 v12, v14, v37
	v_sub_f16_e32 v13, v14, v37
	v_add_f16_e32 v14, v80, v114
	v_fmac_f16_e32 v90, 0xb8b4, v6
	v_fmac_f16_e32 v4, 0x38b4, v6
	;; [unrolled: 1-line block ×3, first 2 shown]
	v_add_f16_e32 v6, v74, v94
	v_add_f16_e32 v104, v118, v119
	v_fmac_f16_e32 v88, 0x38b4, v127
	v_fmac_f16_e32 v35, 0xb8b4, v127
	;; [unrolled: 1-line block ×4, first 2 shown]
	v_add_f16_e32 v3, v3, v96
	v_fmac_f16_e32 v108, 0x38b4, v9
	v_fmac_f16_e32 v72, 0x34f2, v2
	;; [unrolled: 1-line block ×7, first 2 shown]
	v_add_f16_e32 v75, v99, v112
	v_fmac_f16_e32 v81, 0xb8b4, v100
	v_fmac_f16_e32 v116, 0x38b4, v100
	;; [unrolled: 1-line block ×12, first 2 shown]
	v_add_f16_e32 v8, v77, v10
	v_sub_f16_e32 v9, v77, v10
	v_fmac_f16_e32 v97, 0x34f2, v5
	v_add_f16_e32 v5, v14, v6
	v_sub_f16_e32 v6, v14, v6
	v_mul_f16_e32 v10, 0xb8b4, v78
	v_mul_f16_e32 v14, 0x3a79, v78
	v_fmac_f16_e32 v88, 0x34f2, v33
	v_fmac_f16_e32 v35, 0x34f2, v33
	;; [unrolled: 1-line block ×4, first 2 shown]
	v_add_f16_e32 v2, v34, v3
	v_sub_f16_e32 v3, v34, v3
	v_fmac_f16_e32 v108, 0x34f2, v104
	v_mul_f16_e32 v7, 0xbb9c, v72
	v_fmac_f16_e32 v87, 0x34f2, v66
	v_fmac_f16_e32 v107, 0x34f2, v66
	v_mul_f16_e32 v32, 0xbb9c, v86
	v_mul_f16_e32 v33, 0x34f2, v86
	;; [unrolled: 1-line block ×4, first 2 shown]
	v_fmac_f16_e32 v42, 0x34f2, v41
	v_mul_f16_e32 v37, 0xb8b4, v31
	v_mul_f16_e32 v31, 0xba79, v31
	v_fmac_f16_e32 v81, 0x34f2, v39
	v_fmac_f16_e32 v116, 0x34f2, v39
	;; [unrolled: 1-line block ×4, first 2 shown]
	v_mul_f16_e32 v38, 0xb8b4, v91
	v_mul_f16_e32 v39, 0x3a79, v91
	;; [unrolled: 1-line block ×3, first 2 shown]
	v_fmac_f16_e32 v82, 0x34f2, v40
	v_fmac_f16_e32 v43, 0x34f2, v40
	v_fmac_f16_e32 v98, 0x34f2, v104
	v_mul_f16_e32 v40, 0xbb9c, v115
	v_mul_f16_e32 v41, 0x34f2, v115
	;; [unrolled: 1-line block ×4, first 2 shown]
	v_fmac_f16_e32 v10, 0x3a79, v83
	v_fmac_f16_e32 v14, 0x38b4, v83
	;; [unrolled: 1-line block ×18, first 2 shown]
	v_add_f16_e32 v42, v81, v10
	v_add_f16_e32 v70, v79, v14
	v_pack_b32_f16 v8, v8, v12
	v_add_f16_e32 v12, v44, v7
	v_sub_f16_e32 v7, v44, v7
	v_add_f16_e32 v44, v82, v32
	v_add_f16_e32 v69, v43, v34
	v_add_f16_e32 v71, v85, v33
	v_add_f16_e32 v72, v106, v36
	v_sub_f16_e32 v34, v43, v34
	v_add_f16_e32 v43, v116, v37
	v_add_f16_e32 v74, v11, v31
	v_sub_f16_e32 v10, v81, v10
	v_sub_f16_e32 v32, v82, v32
	v_sub_f16_e32 v14, v79, v14
	v_sub_f16_e32 v33, v85, v33
	v_sub_f16_e32 v37, v116, v37
	v_sub_f16_e32 v36, v106, v36
	v_sub_f16_e32 v11, v11, v31
	v_add_f16_e32 v31, v90, v38
	v_add_f16_e32 v76, v4, v68
	v_sub_f16_e32 v4, v4, v68
	v_add_f16_e32 v68, v88, v39
	v_add_f16_e32 v75, v97, v40
	v_add_f16_e32 v77, v89, v41
	v_add_f16_e32 v78, v105, v66
	v_add_f16_e32 v79, v35, v1
	v_sub_f16_e32 v1, v35, v1
	v_pack_b32_f16 v35, v42, v70
	v_pack_b32_f16 v42, v44, v71
	;; [unrolled: 1-line block ×3, first 2 shown]
	v_sub_f16_e32 v38, v90, v38
	v_sub_f16_e32 v40, v97, v40
	;; [unrolled: 1-line block ×4, first 2 shown]
	v_pack_b32_f16 v43, v43, v74
	v_pack_b32_f16 v9, v9, v13
	v_sub_f16_e32 v66, v105, v66
	v_pack_b32_f16 v10, v10, v14
	v_pack_b32_f16 v13, v32, v33
	;; [unrolled: 1-line block ×6, first 2 shown]
	ds_write2st64_b32 v67, v8, v35 offset1:1
	ds_write2st64_b32 v67, v42, v44 offset0:2 offset1:3
	ds_write2st64_b32 v67, v43, v9 offset0:4 offset1:5
	;; [unrolled: 1-line block ×4, first 2 shown]
	v_pack_b32_f16 v8, v75, v77
	v_pack_b32_f16 v9, v12, v78
	;; [unrolled: 1-line block ×8, first 2 shown]
	ds_write2st64_b32 v73, v2, v5 offset1:1
	ds_write2st64_b32 v73, v8, v9 offset0:2 offset1:3
	ds_write2st64_b32 v73, v10, v3 offset0:4 offset1:5
	;; [unrolled: 1-line block ×4, first 2 shown]
	s_waitcnt lgkmcnt(0)
	s_barrier
	buffer_gl0_inv
	ds_read2st64_b32 v[1:2], v48 offset1:2
	ds_read2st64_b32 v[3:4], v48 offset0:8 offset1:10
	ds_read2st64_b32 v[5:6], v48 offset0:20 offset1:22
	;; [unrolled: 1-line block ×9, first 2 shown]
	s_waitcnt lgkmcnt(9)
	v_lshrrev_b32_e32 v37, 16, v1
	s_waitcnt lgkmcnt(8)
	v_lshrrev_b32_e32 v38, 16, v4
	;; [unrolled: 2-line block ×4, first 2 shown]
	v_mul_f16_sdwa v70, v27, v4 dst_sel:DWORD dst_unused:UNUSED_PAD src0_sel:WORD_1 src1_sel:DWORD
	v_mul_f16_sdwa v72, v28, v5 dst_sel:DWORD dst_unused:UNUSED_PAD src0_sel:WORD_1 src1_sel:DWORD
	s_waitcnt lgkmcnt(5)
	v_lshrrev_b32_e32 v42, 16, v9
	v_mul_f16_sdwa v73, v27, v38 dst_sel:DWORD dst_unused:UNUSED_PAD src0_sel:WORD_1 src1_sel:DWORD
	v_mul_f16_sdwa v74, v29, v8 dst_sel:DWORD dst_unused:UNUSED_PAD src0_sel:WORD_1 src1_sel:DWORD
	v_fma_f16 v38, v27, v38, -v70
	v_mul_f16_sdwa v70, v28, v39 dst_sel:DWORD dst_unused:UNUSED_PAD src0_sel:WORD_1 src1_sel:DWORD
	v_fma_f16 v39, v28, v39, -v72
	v_mul_f16_sdwa v72, v29, v40 dst_sel:DWORD dst_unused:UNUSED_PAD src0_sel:WORD_1 src1_sel:DWORD
	v_lshrrev_b32_e32 v43, 16, v6
	v_lshrrev_b32_e32 v67, 16, v10
	s_waitcnt lgkmcnt(4)
	v_lshrrev_b32_e32 v69, 16, v12
	v_fmac_f16_e32 v73, v27, v4
	v_fmac_f16_e32 v70, v28, v5
	v_fma_f16 v4, v29, v40, -v74
	v_mul_f16_sdwa v5, v21, v9 dst_sel:DWORD dst_unused:UNUSED_PAD src0_sel:WORD_1 src1_sel:DWORD
	v_fmac_f16_e32 v72, v29, v8
	v_mul_f16_sdwa v29, v21, v42 dst_sel:DWORD dst_unused:UNUSED_PAD src0_sel:WORD_1 src1_sel:DWORD
	v_lshrrev_b32_e32 v44, 16, v11
	v_mul_f16_sdwa v8, v22, v43 dst_sel:DWORD dst_unused:UNUSED_PAD src0_sel:WORD_1 src1_sel:DWORD
	v_mul_f16_sdwa v28, v22, v6 dst_sel:DWORD dst_unused:UNUSED_PAD src0_sel:WORD_1 src1_sel:DWORD
	v_fma_f16 v5, v21, v42, -v5
	v_fmac_f16_e32 v29, v21, v9
	v_mul_f16_sdwa v9, v18, v67 dst_sel:DWORD dst_unused:UNUSED_PAD src0_sel:WORD_1 src1_sel:DWORD
	v_mul_f16_sdwa v21, v20, v69 dst_sel:DWORD dst_unused:UNUSED_PAD src0_sel:WORD_1 src1_sel:DWORD
	s_waitcnt lgkmcnt(2)
	v_lshrrev_b32_e32 v68, 16, v31
	v_fmac_f16_e32 v8, v22, v6
	v_fma_f16 v22, v22, v43, -v28
	v_mul_f16_sdwa v28, v23, v44 dst_sel:DWORD dst_unused:UNUSED_PAD src0_sel:WORD_1 src1_sel:DWORD
	v_lshrrev_b32_e32 v40, 16, v32
	v_fmac_f16_e32 v9, v18, v10
	v_mul_f16_sdwa v10, v18, v10 dst_sel:DWORD dst_unused:UNUSED_PAD src0_sel:WORD_1 src1_sel:DWORD
	v_fmac_f16_e32 v21, v20, v12
	v_mul_f16_sdwa v12, v20, v12 dst_sel:DWORD dst_unused:UNUSED_PAD src0_sel:WORD_1 src1_sel:DWORD
	s_waitcnt lgkmcnt(1)
	v_lshrrev_b32_e32 v27, 16, v33
	v_mul_f16_sdwa v6, v23, v11 dst_sel:DWORD dst_unused:UNUSED_PAD src0_sel:WORD_1 src1_sel:DWORD
	v_fmac_f16_e32 v28, v23, v11
	s_waitcnt lgkmcnt(0)
	v_lshrrev_b32_e32 v11, 16, v35
	v_mul_f16_sdwa v42, v19, v31 dst_sel:DWORD dst_unused:UNUSED_PAD src0_sel:WORD_1 src1_sel:DWORD
	v_fma_f16 v10, v18, v67, -v10
	v_mul_f16_sdwa v18, v19, v68 dst_sel:DWORD dst_unused:UNUSED_PAD src0_sel:WORD_1 src1_sel:DWORD
	v_fma_f16 v12, v20, v69, -v12
	;; [unrolled: 2-line block ×3, first 2 shown]
	v_lshrrev_b32_e32 v43, 16, v34
	v_fma_f16 v42, v19, v68, -v42
	v_lshrrev_b32_e32 v44, 16, v7
	v_fmac_f16_e32 v18, v19, v31
	v_mul_f16_sdwa v19, v15, v27 dst_sel:DWORD dst_unused:UNUSED_PAD src0_sel:WORD_1 src1_sel:DWORD
	v_mul_f16_sdwa v31, v15, v33 dst_sel:DWORD dst_unused:UNUSED_PAD src0_sel:WORD_1 src1_sel:DWORD
	v_fmac_f16_e32 v20, v16, v32
	v_mul_f16_sdwa v32, v16, v32 dst_sel:DWORD dst_unused:UNUSED_PAD src0_sel:WORD_1 src1_sel:DWORD
	v_mul_f16_sdwa v67, v17, v11 dst_sel:DWORD dst_unused:UNUSED_PAD src0_sel:WORD_1 src1_sel:DWORD
	;; [unrolled: 1-line block ×3, first 2 shown]
	v_lshrrev_b32_e32 v41, 16, v2
	v_fmac_f16_e32 v19, v15, v33
	v_fma_f16 v15, v15, v27, -v31
	v_fma_f16 v16, v16, v40, -v32
	v_fmac_f16_e32 v67, v17, v35
	v_fma_f16 v11, v17, v11, -v68
	v_mul_f16_sdwa v17, v24, v43 dst_sel:DWORD dst_unused:UNUSED_PAD src0_sel:WORD_1 src1_sel:DWORD
	v_mul_f16_sdwa v27, v24, v34 dst_sel:DWORD dst_unused:UNUSED_PAD src0_sel:WORD_1 src1_sel:DWORD
	;; [unrolled: 1-line block ×4, first 2 shown]
	v_lshrrev_b32_e32 v33, 16, v36
	v_fmac_f16_e32 v17, v24, v34
	v_fma_f16 v24, v24, v43, -v27
	v_fmac_f16_e32 v31, v25, v7
	v_fma_f16 v7, v25, v44, -v32
	v_sub_f16_e32 v25, v1, v70
	v_mul_f16_sdwa v27, v26, v33 dst_sel:DWORD dst_unused:UNUSED_PAD src0_sel:WORD_1 src1_sel:DWORD
	v_sub_f16_e32 v32, v73, v72
	v_mul_f16_sdwa v34, v26, v36 dst_sel:DWORD dst_unused:UNUSED_PAD src0_sel:WORD_1 src1_sel:DWORD
	v_sub_f16_e32 v35, v37, v39
	v_sub_f16_e32 v4, v38, v4
	;; [unrolled: 1-line block ×6, first 2 shown]
	v_lshrrev_b32_e32 v66, 16, v13
	v_lshrrev_b32_e32 v71, 16, v14
	v_fma_f16 v1, v1, 2.0, -v25
	v_fma_f16 v39, v73, 2.0, -v32
	v_fmac_f16_e32 v27, v26, v36
	v_fma_f16 v26, v26, v33, -v34
	v_fma_f16 v33, v37, 2.0, -v35
	v_fma_f16 v34, v38, 2.0, -v4
	;; [unrolled: 1-line block ×6, first 2 shown]
	v_lshrrev_b32_e32 v23, 16, v3
	v_sub_f16_e32 v18, v13, v18
	v_sub_f16_e32 v21, v9, v21
	;; [unrolled: 1-line block ×12, first 2 shown]
	v_fma_f16 v13, v13, 2.0, -v18
	v_fma_f16 v9, v9, 2.0, -v21
	;; [unrolled: 1-line block ×8, first 2 shown]
	v_sub_f16_e32 v31, v3, v31
	v_sub_f16_e32 v27, v17, v27
	;; [unrolled: 1-line block ×4, first 2 shown]
	v_fma_f16 v1, v1, 2.0, -v36
	v_fma_f16 v33, v33, 2.0, -v34
	v_fma_f16 v2, v2, 2.0, -v29
	v_fma_f16 v37, v37, 2.0, -v5
	v_add_f16_e32 v6, v8, v6
	v_sub_f16_e32 v28, v22, v28
	v_sub_f16_e32 v9, v13, v9
	;; [unrolled: 1-line block ×3, first 2 shown]
	v_add_f16_e32 v12, v18, v12
	v_sub_f16_e32 v21, v38, v21
	v_sub_f16_e32 v19, v14, v19
	;; [unrolled: 1-line block ×3, first 2 shown]
	v_fma_f16 v3, v3, 2.0, -v31
	v_fma_f16 v17, v17, 2.0, -v27
	;; [unrolled: 1-line block ×4, first 2 shown]
	v_pack_b32_f16 v1, v1, v33
	v_pack_b32_f16 v2, v2, v37
	v_add_f16_e32 v4, v25, v4
	v_sub_f16_e32 v32, v35, v32
	v_fma_f16 v8, v8, 2.0, -v6
	v_fma_f16 v22, v22, 2.0, -v28
	;; [unrolled: 1-line block ×8, first 2 shown]
	v_sub_f16_e32 v17, v3, v17
	v_sub_f16_e32 v24, v23, v24
	v_add_f16_e32 v11, v20, v11
	v_sub_f16_e32 v40, v16, v40
	v_add_f16_e32 v26, v31, v26
	v_sub_f16_e32 v27, v7, v27
	v_pack_b32_f16 v33, v36, v34
	ds_write2st64_b32 v48, v1, v2 offset1:2
	v_pack_b32_f16 v2, v29, v5
	v_pack_b32_f16 v5, v6, v28
	;; [unrolled: 1-line block ×3, first 2 shown]
	v_fma_f16 v25, v25, 2.0, -v4
	v_fma_f16 v35, v35, 2.0, -v32
	;; [unrolled: 1-line block ×4, first 2 shown]
	v_pack_b32_f16 v1, v8, v22
	v_pack_b32_f16 v6, v18, v38
	;; [unrolled: 1-line block ×4, first 2 shown]
	v_fma_f16 v20, v20, 2.0, -v11
	v_fma_f16 v16, v16, 2.0, -v40
	;; [unrolled: 1-line block ×4, first 2 shown]
	ds_write2st64_b32 v48, v33, v2 offset0:20 offset1:22
	ds_write2st64_b32 v48, v1, v6 offset0:12 offset1:14
	v_pack_b32_f16 v1, v9, v10
	ds_write2st64_b32 v48, v5, v12 offset0:32 offset1:34
	ds_write2st64_b32 v48, v8, v13 offset0:4 offset1:6
	v_pack_b32_f16 v5, v19, v15
	v_pack_b32_f16 v25, v25, v35
	;; [unrolled: 1-line block ×9, first 2 shown]
	ds_write2st64_b32 v48, v1, v5 offset0:24 offset1:26
	ds_write2st64_b32 v48, v3, v25 offset0:8 offset1:10
	;; [unrolled: 1-line block ×5, first 2 shown]
	s_waitcnt lgkmcnt(0)
	s_barrier
	buffer_gl0_inv
	ds_read2st64_b32 v[4:5], v48 offset1:2
	s_waitcnt lgkmcnt(0)
	v_lshrrev_b32_e32 v3, 16, v4
	v_mul_f16_sdwa v1, v65, v3 dst_sel:DWORD dst_unused:UNUSED_PAD src0_sel:WORD_1 src1_sel:DWORD
	v_fmac_f16_e32 v1, v65, v4
	v_mul_f16_sdwa v4, v65, v4 dst_sel:DWORD dst_unused:UNUSED_PAD src0_sel:WORD_1 src1_sel:DWORD
	v_cvt_f32_f16_e32 v1, v1
	v_fma_f16 v3, v65, v3, -v4
	v_cvt_f64_f32_e32 v[1:2], v1
	v_cvt_f32_f16_e32 v3, v3
	v_cvt_f64_f32_e32 v[3:4], v3
	v_mul_f64 v[6:7], v[1:2], s[2:3]
	v_mul_f64 v[8:9], v[3:4], s[2:3]
	ds_read2st64_b32 v[2:3], v48 offset0:8 offset1:10
	v_and_or_b32 v1, 0x1ff, v7, v6
	v_lshrrev_b32_e32 v4, 8, v7
	v_bfe_u32 v6, v7, 20, 11
	v_cmp_ne_u32_e32 vcc_lo, 0, v1
	v_and_or_b32 v8, 0x1ff, v9, v8
	s_waitcnt lgkmcnt(0)
	v_lshrrev_b32_e32 v14, 16, v3
	v_lshrrev_b32_e32 v11, 8, v9
	v_bfe_u32 v15, v9, 20, 11
	v_cndmask_b32_e64 v1, 0, 1, vcc_lo
	v_cmp_ne_u32_e32 vcc_lo, 0, v8
	v_mul_f16_sdwa v10, v64, v14 dst_sel:DWORD dst_unused:UNUSED_PAD src0_sel:WORD_1 src1_sel:DWORD
	v_lshrrev_b32_e32 v24, 16, v9
	v_and_or_b32 v16, 0xffe, v4, v1
	v_sub_nc_u32_e32 v1, 0x3f1, v6
	v_cndmask_b32_e64 v8, 0, 1, vcc_lo
	v_fmac_f16_e32 v10, v64, v3
	v_add_nc_u32_e32 v6, 0xfffffc10, v6
	v_or_b32_e32 v4, 0x1000, v16
	v_med3_i32 v1, v1, 0, 13
	v_and_or_b32 v8, 0xffe, v11, v8
	v_sub_nc_u32_e32 v11, 0x3f1, v15
	v_cvt_f32_f16_e32 v10, v10
	v_lshl_or_b32 v18, v6, 12, v16
	v_lshrrev_b32_e32 v12, v1, v4
	v_mul_f16_sdwa v3, v64, v3 dst_sel:DWORD dst_unused:UNUSED_PAD src0_sel:WORD_1 src1_sel:DWORD
	v_med3_i32 v17, v11, 0, 13
	v_cvt_f64_f32_e32 v[10:11], v10
	v_lshlrev_b32_e32 v1, v1, v12
	v_fma_f16 v3, v64, v14, -v3
	v_cmp_ne_u32_e32 vcc_lo, v1, v4
	v_or_b32_e32 v4, 0x1000, v8
	v_cvt_f32_f16_e32 v3, v3
	v_cndmask_b32_e64 v1, 0, 1, vcc_lo
	v_lshrrev_b32_e32 v19, v17, v4
	v_cmp_gt_i32_e32 vcc_lo, 1, v6
	v_or_b32_e32 v1, v12, v1
	v_lshlrev_b32_e32 v17, v17, v19
	v_mad_u64_u32 v[12:13], null, s10, v30, 0
	v_cndmask_b32_e32 v18, v18, v1, vcc_lo
	v_cmp_ne_u32_e32 vcc_lo, v17, v4
	v_add_nc_u32_e32 v17, 0xfffffc10, v15
	v_cvt_f64_f32_e32 v[14:15], v3
	v_mul_f64 v[10:11], v[10:11], s[2:3]
	v_and_b32_e32 v20, 7, v18
	v_mov_b32_e32 v1, v13
	v_cndmask_b32_e64 v4, 0, 1, vcc_lo
	v_cmp_gt_i32_e64 s1, 1, v17
	v_cmp_lt_i32_e32 vcc_lo, 5, v20
	v_cmp_eq_u32_e64 s0, 3, v20
	v_or_b32_e32 v13, v19, v4
	v_mad_u64_u32 v[3:4], null, s11, v30, v[1:2]
	v_lshrrev_b32_e32 v1, 2, v18
	s_or_b32 vcc_lo, s0, vcc_lo
	v_lshl_or_b32 v19, v17, 12, v8
	v_add_co_ci_u32_e32 v1, vcc_lo, 0, v1, vcc_lo
	v_cmp_ne_u32_e32 vcc_lo, 0, v16
	v_cndmask_b32_e64 v18, v19, v13, s1
	v_mov_b32_e32 v13, v3
	v_mul_f64 v[14:15], v[14:15], s[2:3]
	v_and_or_b32 v10, 0x1ff, v11, v10
	v_cndmask_b32_e64 v4, 0, 1, vcc_lo
	v_and_b32_e32 v16, 7, v18
	v_cmp_gt_i32_e32 vcc_lo, 31, v6
	v_cmp_eq_u32_e64 s1, 0x40f, v6
	v_lshl_or_b32 v19, v4, 9, 0x7c00
	ds_read2st64_b32 v[3:4], v48 offset0:20 offset1:22
	v_cndmask_b32_e32 v1, 0x7c00, v1, vcc_lo
	v_cmp_lt_i32_e32 vcc_lo, 5, v16
	v_cmp_eq_u32_e64 s0, 3, v16
	v_lshrrev_b32_e32 v16, 2, v18
	v_bfe_u32 v18, v11, 20, 11
	v_cndmask_b32_e64 v1, v1, v19, s1
	v_lshrrev_b32_e32 v19, 16, v7
	s_or_b32 vcc_lo, s0, vcc_lo
	v_add_co_ci_u32_e32 v6, vcc_lo, 0, v16, vcc_lo
	v_cmp_ne_u32_e32 vcc_lo, 0, v10
	v_lshrrev_b32_e32 v16, 8, v11
	v_and_or_b32 v14, 0x1ff, v15, v14
	v_and_or_b32 v19, 0x8000, v19, v1
	v_cndmask_b32_e64 v10, 0, 1, vcc_lo
	v_cmp_ne_u32_e32 vcc_lo, 0, v8
	s_waitcnt lgkmcnt(0)
	v_lshrrev_b32_e32 v21, 16, v3
	v_and_b32_e32 v19, 0xffff, v19
	v_and_or_b32 v10, 0xffe, v16, v10
	v_cndmask_b32_e64 v8, 0, 1, vcc_lo
	v_cmp_gt_i32_e32 vcc_lo, 31, v17
	v_sub_nc_u32_e32 v16, 0x3f1, v18
	v_mul_f16_sdwa v23, v63, v21 dst_sel:DWORD dst_unused:UNUSED_PAD src0_sel:WORD_1 src1_sel:DWORD
	v_or_b32_e32 v22, 0x1000, v10
	v_lshl_or_b32 v8, v8, 9, 0x7c00
	v_cndmask_b32_e32 v20, 0x7c00, v6, vcc_lo
	v_med3_i32 v16, v16, 0, 13
	v_cmp_eq_u32_e32 vcc_lo, 0x40f, v17
	v_mad_u64_u32 v[6:7], null, s8, v0, 0
	v_fmac_f16_e32 v23, v63, v3
	v_add_nc_u32_e32 v18, 0xfffffc10, v18
	v_cndmask_b32_e32 v17, v20, v8, vcc_lo
	v_lshrrev_b32_e32 v20, v16, v22
	v_cmp_ne_u32_e32 vcc_lo, 0, v14
	v_cvt_f32_f16_e32 v8, v23
	v_mov_b32_e32 v1, v7
	v_bfe_u32 v23, v15, 20, 11
	v_lshlrev_b32_e32 v7, v16, v20
	v_cndmask_b32_e64 v14, 0, 1, vcc_lo
	v_lshrrev_b32_e32 v16, 8, v15
	v_cvt_f64_f32_e32 v[8:9], v8
	v_mad_u64_u32 v[0:1], null, s9, v0, v[1:2]
	v_sub_nc_u32_e32 v1, 0x3f1, v23
	v_and_or_b32 v14, 0xffe, v16, v14
	v_cmp_ne_u32_e32 vcc_lo, v7, v22
	v_and_or_b32 v16, 0x8000, v24, v17
	v_mul_f16_sdwa v3, v63, v3 dst_sel:DWORD dst_unused:UNUSED_PAD src0_sel:WORD_1 src1_sel:DWORD
	v_med3_i32 v24, v1, 0, 13
	v_or_b32_e32 v22, 0x1000, v14
	v_cndmask_b32_e64 v17, 0, 1, vcc_lo
	v_cmp_gt_i32_e32 vcc_lo, 1, v18
	v_mov_b32_e32 v7, v0
	v_lshlrev_b64 v[0:1], 2, v[12:13]
	v_lshrrev_b32_e32 v25, v24, v22
	v_or_b32_e32 v17, v20, v17
	v_lshl_or_b32 v20, v18, 12, v10
	v_fma_f16 v3, v63, v21, -v3
	v_lshlrev_b64 v[6:7], 2, v[6:7]
	v_lshlrev_b32_e32 v13, v24, v25
	v_lshl_or_b32 v16, v16, 16, v19
	v_cndmask_b32_e32 v12, v20, v17, vcc_lo
	v_mul_f64 v[8:9], v[8:9], s[2:3]
	v_cvt_f32_f16_e32 v3, v3
	v_cmp_ne_u32_e32 vcc_lo, v13, v22
	v_add_nc_u32_e32 v19, 0xfffffc10, v23
	v_and_b32_e32 v17, 7, v12
	v_lshrrev_b32_e32 v12, 2, v12
	v_lshrrev_b32_e32 v15, 16, v15
	v_cndmask_b32_e64 v13, 0, 1, vcc_lo
	v_add_co_u32 v20, vcc_lo, s4, v0
	v_add_co_ci_u32_e32 v21, vcc_lo, s5, v1, vcc_lo
	v_cvt_f64_f32_e32 v[0:1], v3
	v_cmp_lt_i32_e32 vcc_lo, 5, v17
	v_cmp_eq_u32_e64 s0, 3, v17
	v_or_b32_e32 v3, v25, v13
	v_lshl_or_b32 v13, v19, 12, v14
	v_cmp_gt_i32_e64 s1, 1, v19
	s_mul_hi_u32 s4, s8, 0xa00
	s_or_b32 vcc_lo, s0, vcc_lo
	s_mul_i32 s5, s8, 0xa00
	v_add_co_ci_u32_e32 v12, vcc_lo, 0, v12, vcc_lo
	v_add_co_u32 v6, vcc_lo, v20, v6
	v_add_co_ci_u32_e32 v7, vcc_lo, v21, v7, vcc_lo
	v_cmp_ne_u32_e32 vcc_lo, 0, v10
	v_cndmask_b32_e64 v3, v13, v3, s1
	v_and_or_b32 v8, 0x1ff, v9, v8
	v_lshrrev_b32_e32 v21, 8, v9
	v_bfe_u32 v22, v9, 20, 11
	v_cndmask_b32_e64 v10, 0, 1, vcc_lo
	v_cmp_gt_i32_e32 vcc_lo, 31, v18
	v_and_b32_e32 v17, 7, v3
	v_cmp_ne_u32_e64 s0, 0, v8
	v_lshrrev_b32_e32 v3, 2, v3
	v_lshl_or_b32 v10, v10, 9, 0x7c00
	v_cndmask_b32_e32 v20, 0x7c00, v12, vcc_lo
	v_mul_f64 v[12:13], v[0:1], s[2:3]
	ds_read2st64_b32 v[0:1], v48 offset0:28 offset1:30
	v_cmp_lt_i32_e32 vcc_lo, 5, v17
	v_cndmask_b32_e64 v8, 0, 1, s0
	v_cmp_eq_u32_e64 s0, 3, v17
	v_sub_nc_u32_e32 v17, 0x3f1, v22
	global_store_dword v[6:7], v16, off
	s_mul_i32 s1, s9, 0xa00
	v_and_or_b32 v8, 0xffe, v21, v8
	s_or_b32 vcc_lo, s0, vcc_lo
	v_med3_i32 v17, v17, 0, 13
	v_add_co_ci_u32_e32 v3, vcc_lo, 0, v3, vcc_lo
	v_cmp_ne_u32_e32 vcc_lo, 0, v14
	v_or_b32_e32 v21, 0x1000, v8
	s_add_i32 s4, s4, s1
	v_cndmask_b32_e64 v14, 0, 1, vcc_lo
	v_cmp_gt_i32_e32 vcc_lo, 31, v19
	v_lshrrev_b32_e32 v24, v17, v21
	s_waitcnt lgkmcnt(0)
	v_lshrrev_b32_e32 v23, 16, v1
	v_and_or_b32 v12, 0x1ff, v13, v12
	v_lshl_or_b32 v14, v14, 9, 0x7c00
	v_cndmask_b32_e32 v3, 0x7c00, v3, vcc_lo
	v_cmp_eq_u32_e32 vcc_lo, 0x40f, v18
	v_bfe_u32 v25, v13, 20, 11
	v_cndmask_b32_e32 v18, v20, v10, vcc_lo
	v_mul_f16_sdwa v10, v62, v23 dst_sel:DWORD dst_unused:UNUSED_PAD src0_sel:WORD_1 src1_sel:DWORD
	v_cmp_ne_u32_e32 vcc_lo, 0, v12
	v_lshrrev_b32_e32 v20, 16, v11
	v_lshlrev_b32_e32 v11, v17, v24
	v_lshrrev_b32_e32 v17, 8, v13
	v_fmac_f16_e32 v10, v62, v1
	v_cndmask_b32_e64 v12, 0, 1, vcc_lo
	v_cmp_eq_u32_e32 vcc_lo, 0x40f, v19
	v_add_nc_u32_e32 v19, 0xfffffc10, v22
	v_mul_f16_sdwa v1, v62, v1 dst_sel:DWORD dst_unused:UNUSED_PAD src0_sel:WORD_1 src1_sel:DWORD
	v_cvt_f32_f16_e32 v10, v10
	v_and_or_b32 v12, 0xffe, v17, v12
	v_cndmask_b32_e32 v3, v3, v14, vcc_lo
	v_sub_nc_u32_e32 v14, 0x3f1, v25
	v_cmp_ne_u32_e32 vcc_lo, v11, v21
	v_cvt_f64_f32_e32 v[10:11], v10
	v_or_b32_e32 v21, 0x1000, v12
	v_lshl_or_b32 v22, v19, 12, v8
	v_med3_i32 v14, v14, 0, 13
	v_cndmask_b32_e64 v17, 0, 1, vcc_lo
	v_cmp_gt_i32_e32 vcc_lo, 1, v19
	v_fma_f16 v1, v62, v23, -v1
	v_and_or_b32 v16, 0x8000, v20, v18
	v_and_or_b32 v3, 0x8000, v15, v3
	v_or_b32_e32 v17, v24, v17
	v_lshrrev_b32_e32 v24, v14, v21
	v_cvt_f32_f16_e32 v1, v1
	v_and_b32_e32 v16, 0xffff, v16
	v_cmp_eq_u32_e64 s1, 0x40f, v19
	v_cndmask_b32_e32 v17, v22, v17, vcc_lo
	v_lshlrev_b32_e32 v14, v14, v24
	v_lshl_or_b32 v3, v3, 16, v16
	v_and_b32_e32 v18, 7, v17
	v_cmp_ne_u32_e64 s0, v14, v21
	v_cvt_f64_f32_e32 v[14:15], v1
	v_mul_f64 v[10:11], v[10:11], s[2:3]
	v_lshrrev_b32_e32 v17, 2, v17
	v_cmp_lt_i32_e32 vcc_lo, 5, v18
	v_cndmask_b32_e64 v20, 0, 1, s0
	v_cmp_eq_u32_e64 s0, 3, v18
	v_add_nc_u32_e32 v1, 0xfffffc10, v25
	v_or_b32_e32 v18, v24, v20
	s_or_b32 vcc_lo, s0, vcc_lo
	v_lshl_or_b32 v20, v1, 12, v12
	v_add_co_ci_u32_e32 v17, vcc_lo, 0, v17, vcc_lo
	v_cmp_gt_i32_e32 vcc_lo, 1, v1
	v_cndmask_b32_e32 v18, v20, v18, vcc_lo
	v_cmp_ne_u32_e32 vcc_lo, 0, v8
	v_mul_f64 v[14:15], v[14:15], s[2:3]
	v_and_or_b32 v10, 0x1ff, v11, v10
	v_and_b32_e32 v16, 7, v18
	v_cndmask_b32_e64 v8, 0, 1, vcc_lo
	v_cmp_gt_i32_e32 vcc_lo, 31, v19
	v_lshrrev_b32_e32 v19, 16, v5
	v_bfe_u32 v20, v11, 20, 11
	v_cmp_eq_u32_e64 s0, 3, v16
	v_lshl_or_b32 v8, v8, 9, 0x7c00
	v_cndmask_b32_e32 v17, 0x7c00, v17, vcc_lo
	v_cmp_lt_i32_e32 vcc_lo, 5, v16
	v_cndmask_b32_e64 v16, v17, v8, s1
	v_lshrrev_b32_e32 v8, 2, v18
	v_cmp_ne_u32_e64 s1, 0, v10
	v_mul_f16_sdwa v18, v61, v19 dst_sel:DWORD dst_unused:UNUSED_PAD src0_sel:WORD_1 src1_sel:DWORD
	s_or_b32 vcc_lo, s0, vcc_lo
	v_lshrrev_b32_e32 v17, 16, v9
	v_add_co_ci_u32_e32 v8, vcc_lo, 0, v8, vcc_lo
	v_cndmask_b32_e64 v9, 0, 1, s1
	v_lshrrev_b32_e32 v10, 8, v11
	v_cmp_ne_u32_e32 vcc_lo, 0, v12
	v_fmac_f16_e32 v18, v61, v5
	v_and_or_b32 v14, 0x1ff, v15, v14
	v_lshrrev_b32_e32 v24, 8, v15
	v_and_or_b32 v10, 0xffe, v10, v9
	v_sub_nc_u32_e32 v9, 0x3f1, v20
	v_cndmask_b32_e64 v12, 0, 1, vcc_lo
	v_cmp_gt_i32_e32 vcc_lo, 31, v1
	v_cvt_f32_f16_e32 v18, v18
	v_or_b32_e32 v21, 0x1000, v10
	v_med3_i32 v22, v9, 0, 13
	v_lshl_or_b32 v12, v12, 9, 0x7c00
	v_cndmask_b32_e32 v23, 0x7c00, v8, vcc_lo
	v_cmp_ne_u32_e32 vcc_lo, 0, v14
	v_cvt_f64_f32_e32 v[8:9], v18
	v_lshrrev_b32_e32 v18, v22, v21
	v_bfe_u32 v25, v15, 20, 11
	v_mul_f16_sdwa v5, v61, v5 dst_sel:DWORD dst_unused:UNUSED_PAD src0_sel:WORD_1 src1_sel:DWORD
	v_cndmask_b32_e64 v14, 0, 1, vcc_lo
	v_cmp_eq_u32_e32 vcc_lo, 0x40f, v1
	v_add_nc_u32_e32 v20, 0xfffffc10, v20
	v_and_or_b32 v16, 0x8000, v17, v16
	v_fma_f16 v5, v61, v19, -v5
	v_and_or_b32 v14, 0xffe, v24, v14
	v_cndmask_b32_e32 v1, v23, v12, vcc_lo
	v_lshrrev_b32_e32 v12, 16, v13
	v_lshlrev_b32_e32 v13, v22, v18
	v_sub_nc_u32_e32 v22, 0x3f1, v25
	v_or_b32_e32 v23, 0x1000, v14
	v_cvt_f32_f16_e32 v5, v5
	v_and_or_b32 v1, 0x8000, v12, v1
	v_cmp_ne_u32_e32 vcc_lo, v13, v21
	v_med3_i32 v12, v22, 0, 13
	v_and_b32_e32 v19, 0xffff, v16
	v_cmp_eq_u32_e64 s1, 0x40f, v20
	v_lshrrev_b32_e32 v11, 16, v11
	v_cndmask_b32_e64 v13, 0, 1, vcc_lo
	v_lshrrev_b32_e32 v21, v12, v23
	v_mul_f64 v[8:9], v[8:9], s[2:3]
	v_cmp_gt_i32_e32 vcc_lo, 1, v20
	v_lshl_or_b32 v1, v1, 16, v19
	v_or_b32_e32 v17, v18, v13
	v_lshl_or_b32 v18, v20, 12, v10
	v_lshlrev_b32_e32 v22, v12, v21
	v_cvt_f64_f32_e32 v[12:13], v5
	v_lshrrev_b32_e32 v15, 16, v15
	v_cndmask_b32_e32 v5, v18, v17, vcc_lo
	v_add_co_u32 v16, vcc_lo, v6, s5
	v_add_co_ci_u32_e32 v17, vcc_lo, s4, v7, vcc_lo
	v_and_b32_e32 v6, 7, v5
	v_add_co_u32 v18, vcc_lo, v16, s5
	v_add_co_ci_u32_e32 v19, vcc_lo, s4, v17, vcc_lo
	v_cmp_ne_u32_e32 vcc_lo, v22, v23
	v_cmp_eq_u32_e64 s0, 3, v6
	v_lshrrev_b32_e32 v5, 2, v5
	v_add_nc_u32_e32 v22, 0xfffffc10, v25
	v_bfe_u32 v25, v9, 20, 11
	v_cndmask_b32_e64 v7, 0, 1, vcc_lo
	v_cmp_lt_i32_e32 vcc_lo, 5, v6
	v_and_or_b32 v6, 0x1ff, v9, v8
	v_lshl_or_b32 v23, v22, 12, v14
	global_store_dword v[16:17], v3, off
	v_or_b32_e32 v21, v21, v7
	s_or_b32 vcc_lo, s0, vcc_lo
	v_mul_f64 v[7:8], v[12:13], s[2:3]
	v_add_co_ci_u32_e32 v24, vcc_lo, 0, v5, vcc_lo
	v_cmp_ne_u32_e32 vcc_lo, 0, v6
	v_lshrrev_b32_e32 v13, 8, v9
	ds_read2st64_b32 v[5:6], v48 offset0:12 offset1:14
	global_store_dword v[18:19], v1, off
	v_cndmask_b32_e64 v12, 0, 1, vcc_lo
	v_cmp_gt_i32_e32 vcc_lo, 1, v22
	v_cndmask_b32_e32 v21, v23, v21, vcc_lo
	v_cmp_ne_u32_e32 vcc_lo, 0, v10
	v_and_or_b32 v23, 0xffe, v13, v12
	v_sub_nc_u32_e32 v12, 0x3f1, v25
	v_and_b32_e32 v13, 7, v21
	v_cndmask_b32_e64 v10, 0, 1, vcc_lo
	v_cmp_gt_i32_e32 vcc_lo, 31, v20
	v_or_b32_e32 v26, 0x1000, v23
	v_med3_i32 v12, v12, 0, 13
	v_and_or_b32 v7, 0x1ff, v8, v7
	v_lshl_or_b32 v10, v10, 9, 0x7c00
	v_cndmask_b32_e32 v24, 0x7c00, v24, vcc_lo
	s_waitcnt lgkmcnt(0)
	v_lshrrev_b32_e32 v16, 16, v5
	v_lshrrev_b32_e32 v3, v12, v26
	v_cmp_lt_i32_e32 vcc_lo, 5, v13
	v_cmp_eq_u32_e64 s0, 3, v13
	v_cndmask_b32_e64 v10, v24, v10, s1
	v_cmp_ne_u32_e64 s1, 0, v7
	v_lshlrev_b32_e32 v12, v12, v3
	v_lshrrev_b32_e32 v13, 2, v21
	v_mul_f16_sdwa v17, v60, v16 dst_sel:DWORD dst_unused:UNUSED_PAD src0_sel:WORD_1 src1_sel:DWORD
	v_add_nc_u32_e32 v24, 0xfffffc10, v25
	v_cndmask_b32_e64 v7, 0, 1, s1
	v_cmp_ne_u32_e64 s1, v12, v26
	s_or_b32 vcc_lo, s0, vcc_lo
	v_fmac_f16_e32 v17, v60, v5
	v_add_co_ci_u32_e32 v26, vcc_lo, 0, v13, vcc_lo
	v_cndmask_b32_e64 v12, 0, 1, s1
	v_cmp_gt_i32_e32 vcc_lo, 1, v24
	v_lshrrev_b32_e32 v20, 8, v8
	v_bfe_u32 v21, v8, 20, 11
	v_cvt_f32_f16_e32 v17, v17
	v_or_b32_e32 v3, v3, v12
	v_lshl_or_b32 v12, v24, 12, v23
	v_and_or_b32 v7, 0xffe, v20, v7
	v_sub_nc_u32_e32 v20, 0x3f1, v21
	v_mul_f16_sdwa v5, v60, v5 dst_sel:DWORD dst_unused:UNUSED_PAD src0_sel:WORD_1 src1_sel:DWORD
	v_and_or_b32 v28, 0x8000, v11, v10
	v_cndmask_b32_e32 v3, v12, v3, vcc_lo
	v_cmp_ne_u32_e32 vcc_lo, 0, v14
	v_cvt_f64_f32_e32 v[12:13], v17
	v_or_b32_e32 v25, 0x1000, v7
	v_med3_i32 v20, v20, 0, 13
	v_fma_f16 v5, v60, v16, -v5
	v_cndmask_b32_e64 v14, 0, 1, vcc_lo
	v_cmp_gt_i32_e32 vcc_lo, 31, v22
	v_lshrrev_b32_e32 v27, v20, v25
	v_cvt_f32_f16_e32 v5, v5
	v_lshl_or_b32 v14, v14, 9, 0x7c00
	v_cndmask_b32_e32 v17, 0x7c00, v26, vcc_lo
	v_and_b32_e32 v26, 7, v3
	v_lshrrev_b32_e32 v3, 2, v3
	v_lshlrev_b32_e32 v20, v20, v27
	v_cmp_lt_i32_e32 vcc_lo, 5, v26
	v_cmp_eq_u32_e64 s0, 3, v26
	v_cmp_ne_u32_e64 s1, v20, v25
	v_add_nc_u32_e32 v20, 0xfffffc10, v21
	s_or_b32 vcc_lo, s0, vcc_lo
	v_mul_f64 v[10:11], v[12:13], s[2:3]
	v_add_co_ci_u32_e32 v3, vcc_lo, 0, v3, vcc_lo
	v_cmp_ne_u32_e32 vcc_lo, 0, v23
	v_cndmask_b32_e64 v16, 0, 1, s1
	v_cvt_f64_f32_e32 v[12:13], v5
	v_lshl_or_b32 v21, v20, 12, v7
	v_cndmask_b32_e64 v5, 0, 1, vcc_lo
	v_cmp_eq_u32_e32 vcc_lo, 0x40f, v22
	v_or_b32_e32 v16, v27, v16
	v_lshrrev_b32_e32 v22, 16, v8
	v_lshl_or_b32 v5, v5, 9, 0x7c00
	v_cndmask_b32_e32 v14, v17, v14, vcc_lo
	v_cmp_gt_i32_e32 vcc_lo, 1, v20
	v_and_or_b32 v1, 0x8000, v15, v14
	v_cndmask_b32_e32 v16, v21, v16, vcc_lo
	v_cmp_gt_i32_e32 vcc_lo, 31, v24
	v_and_b32_e32 v14, 0xffff, v28
	v_lshrrev_b32_e32 v15, 16, v9
	v_and_b32_e32 v17, 7, v16
	v_cndmask_b32_e32 v3, 0x7c00, v3, vcc_lo
	v_cmp_eq_u32_e32 vcc_lo, 0x40f, v24
	v_lshl_or_b32 v1, v1, 16, v14
	v_lshrrev_b32_e32 v14, 2, v16
	v_cmp_eq_u32_e64 s0, 3, v17
	v_lshrrev_b32_e32 v16, 16, v4
	v_cndmask_b32_e32 v3, v3, v5, vcc_lo
	v_and_or_b32 v5, 0x1ff, v11, v10
	v_cmp_lt_i32_e32 vcc_lo, 5, v17
	v_mul_f64 v[9:10], v[12:13], s[2:3]
	v_lshrrev_b32_e32 v12, 8, v11
	v_bfe_u32 v17, v11, 20, 11
	v_cmp_ne_u32_e64 s1, 0, v5
	s_or_b32 vcc_lo, s0, vcc_lo
	v_and_or_b32 v3, 0x8000, v15, v3
	v_add_co_ci_u32_e32 v13, vcc_lo, 0, v14, vcc_lo
	v_cndmask_b32_e64 v5, 0, 1, s1
	v_cmp_ne_u32_e32 vcc_lo, 0, v7
	v_sub_nc_u32_e32 v14, 0x3f1, v17
	v_and_b32_e32 v3, 0xffff, v3
	v_add_nc_u32_e32 v17, 0xfffffc10, v17
	v_and_or_b32 v5, 0xffe, v12, v5
	v_mul_f16_sdwa v12, v59, v16 dst_sel:DWORD dst_unused:UNUSED_PAD src0_sel:WORD_1 src1_sel:DWORD
	v_cndmask_b32_e64 v7, 0, 1, vcc_lo
	v_cmp_gt_i32_e32 vcc_lo, 31, v20
	v_med3_i32 v14, v14, 0, 13
	v_or_b32_e32 v21, 0x1000, v5
	v_fmac_f16_e32 v12, v59, v4
	v_lshl_or_b32 v7, v7, 9, 0x7c00
	v_cndmask_b32_e32 v13, 0x7c00, v13, vcc_lo
	v_cmp_eq_u32_e32 vcc_lo, 0x40f, v20
	v_and_or_b32 v9, 0x1ff, v10, v9
	v_cvt_f32_f16_e32 v12, v12
	v_lshrrev_b32_e32 v15, v14, v21
	s_mul_hi_u32 s0, s8, 0xffffe400
	v_cndmask_b32_e32 v20, v13, v7, vcc_lo
	s_mul_i32 s1, s9, 0xffffe400
	v_cvt_f64_f32_e32 v[7:8], v12
	v_add_co_u32 v12, vcc_lo, v18, s5
	v_add_co_ci_u32_e32 v13, vcc_lo, s4, v19, vcc_lo
	v_cmp_ne_u32_e32 vcc_lo, 0, v9
	v_and_or_b32 v18, 0x8000, v22, v20
	v_lshrrev_b32_e32 v19, 8, v10
	v_bfe_u32 v20, v10, 20, 11
	v_lshlrev_b32_e32 v14, v14, v15
	v_cndmask_b32_e64 v9, 0, 1, vcc_lo
	v_lshl_or_b32 v18, v18, 16, v3
	v_mul_f16_sdwa v3, v59, v4 dst_sel:DWORD dst_unused:UNUSED_PAD src0_sel:WORD_1 src1_sel:DWORD
	global_store_dword v[12:13], v1, off
	v_cmp_ne_u32_e32 vcc_lo, v14, v21
	v_and_or_b32 v19, 0xffe, v19, v9
	v_sub_nc_u32_e32 v9, 0x3f1, v20
	v_fma_f16 v3, v59, v16, -v3
	v_lshl_or_b32 v4, v17, 12, v5
	v_cndmask_b32_e64 v1, 0, 1, vcc_lo
	v_or_b32_e32 v14, 0x1000, v19
	v_med3_i32 v21, v9, 0, 13
	v_mul_f64 v[8:9], v[7:8], s[2:3]
	v_cmp_gt_i32_e32 vcc_lo, 1, v17
	v_or_b32_e32 v1, v15, v1
	v_cvt_f32_f16_e32 v3, v3
	v_lshrrev_b32_e32 v7, v21, v14
	s_sub_i32 s6, s0, s8
	v_cndmask_b32_e32 v1, v4, v1, vcc_lo
	v_cvt_f64_f32_e32 v[3:4], v3
	v_lshlrev_b32_e32 v16, v21, v7
	s_add_i32 s6, s6, s1
	v_and_b32_e32 v15, 7, v1
	v_lshrrev_b32_e32 v1, 2, v1
	v_cmp_ne_u32_e64 s1, v16, v14
	v_add_nc_u32_e32 v16, 0xfffffc10, v20
	v_cmp_lt_i32_e32 vcc_lo, 5, v15
	v_cmp_eq_u32_e64 s0, 3, v15
	v_cndmask_b32_e64 v14, 0, 1, s1
	v_add_co_u32 v12, s1, v12, s7
	v_and_or_b32 v15, 0x1ff, v9, v8
	v_add_co_ci_u32_e64 v13, s1, s6, v13, s1
	v_or_b32_e32 v20, v7, v14
	ds_read2st64_b32 v[7:8], v48 offset0:32 offset1:34
	v_cmp_ne_u32_e64 s1, 0, v15
	v_lshl_or_b32 v21, v16, 12, v19
	s_or_b32 vcc_lo, s0, vcc_lo
	v_mul_f64 v[14:15], v[3:4], s[2:3]
	v_add_co_ci_u32_e32 v1, vcc_lo, 0, v1, vcc_lo
	v_cndmask_b32_e64 v22, 0, 1, s1
	v_cmp_gt_i32_e64 s1, 1, v16
	v_cmp_ne_u32_e32 vcc_lo, 0, v5
	v_lshrrev_b32_e32 v23, 8, v9
	v_bfe_u32 v24, v9, 20, 11
	global_store_dword v[12:13], v18, off
	v_cndmask_b32_e64 v3, v21, v20, s1
	v_cndmask_b32_e64 v5, 0, 1, vcc_lo
	v_cmp_gt_i32_e32 vcc_lo, 31, v17
	v_and_or_b32 v20, 0xffe, v23, v22
	v_sub_nc_u32_e32 v4, 0x3f1, v24
	v_and_b32_e32 v21, 7, v3
	v_lshrrev_b32_e32 v3, 2, v3
	v_cndmask_b32_e32 v1, 0x7c00, v1, vcc_lo
	s_waitcnt lgkmcnt(0)
	v_lshrrev_b32_e32 v23, 16, v7
	v_or_b32_e32 v22, 0x1000, v20
	v_cmp_lt_i32_e32 vcc_lo, 5, v21
	v_cmp_eq_u32_e64 s0, 3, v21
	v_med3_i32 v4, v4, 0, 13
	v_mul_f16_sdwa v21, v58, v23 dst_sel:DWORD dst_unused:UNUSED_PAD src0_sel:WORD_1 src1_sel:DWORD
	v_and_or_b32 v14, 0x1ff, v15, v14
	v_bfe_u32 v27, v15, 20, 11
	s_or_b32 vcc_lo, s0, vcc_lo
	v_lshrrev_b32_e32 v25, v4, v22
	v_add_co_ci_u32_e32 v3, vcc_lo, 0, v3, vcc_lo
	v_cmp_gt_i32_e32 vcc_lo, 31, v16
	v_fmac_f16_e32 v21, v58, v7
	v_lshlrev_b32_e32 v4, v4, v25
	v_lshl_or_b32 v5, v5, 9, 0x7c00
	v_add_nc_u32_e32 v24, 0xfffffc10, v24
	v_cndmask_b32_e32 v26, 0x7c00, v3, vcc_lo
	v_cmp_ne_u32_e32 vcc_lo, 0, v14
	v_cvt_f32_f16_e32 v3, v21
	v_lshrrev_b32_e32 v21, 8, v15
	v_mul_f16_sdwa v7, v58, v7 dst_sel:DWORD dst_unused:UNUSED_PAD src0_sel:WORD_1 src1_sel:DWORD
	v_lshrrev_b32_e32 v9, 16, v9
	v_cndmask_b32_e64 v14, 0, 1, vcc_lo
	v_cmp_ne_u32_e32 vcc_lo, v4, v22
	v_cvt_f64_f32_e32 v[3:4], v3
	v_and_or_b32 v14, 0xffe, v21, v14
	v_cndmask_b32_e64 v22, 0, 1, vcc_lo
	v_sub_nc_u32_e32 v21, 0x3f1, v27
	v_cmp_ne_u32_e32 vcc_lo, 0, v19
	v_or_b32_e32 v28, 0x1000, v14
	v_or_b32_e32 v22, v25, v22
	v_med3_i32 v21, v21, 0, 13
	v_cndmask_b32_e64 v19, 0, 1, vcc_lo
	v_cmp_eq_u32_e32 vcc_lo, 0x40f, v17
	v_lshl_or_b32 v25, v24, 12, v20
	v_lshrrev_b32_e32 v17, v21, v28
	v_lshl_or_b32 v19, v19, 9, 0x7c00
	v_cndmask_b32_e32 v1, v1, v5, vcc_lo
	v_lshrrev_b32_e32 v5, 16, v11
	v_cmp_gt_i32_e32 vcc_lo, 1, v24
	v_and_or_b32 v1, 0x8000, v5, v1
	v_cndmask_b32_e32 v22, v25, v22, vcc_lo
	v_cmp_eq_u32_e32 vcc_lo, 0x40f, v16
	v_lshlrev_b32_e32 v5, v21, v17
	v_and_b32_e32 v1, 0xffff, v1
	v_and_b32_e32 v21, 7, v22
	v_cndmask_b32_e32 v16, v26, v19, vcc_lo
	v_lshrrev_b32_e32 v19, 16, v10
	v_mul_f64 v[10:11], v[3:4], s[2:3]
	v_fma_f16 v4, v58, v23, -v7
	v_cmp_ne_u32_e64 s0, v5, v28
	v_cmp_lt_i32_e32 vcc_lo, 5, v21
	v_and_or_b32 v3, 0x8000, v19, v16
	v_lshrrev_b32_e32 v18, 2, v22
	v_cvt_f32_f16_e32 v16, v4
	v_cndmask_b32_e64 v5, 0, 1, s0
	v_cmp_eq_u32_e64 s0, 3, v21
	v_add_nc_u32_e32 v7, 0xfffffc10, v27
	v_lshl_or_b32 v1, v3, 16, v1
	v_or_b32_e32 v19, v17, v5
	v_cvt_f64_f32_e32 v[16:17], v16
	s_or_b32 vcc_lo, s0, vcc_lo
	ds_read2st64_b32 v[4:5], v48 offset0:4 offset1:6
	v_add_co_ci_u32_e32 v18, vcc_lo, 0, v18, vcc_lo
	v_lshl_or_b32 v21, v7, 12, v14
	v_cmp_gt_i32_e32 vcc_lo, 1, v7
	v_and_or_b32 v10, 0x1ff, v11, v10
	v_cndmask_b32_e32 v19, v21, v19, vcc_lo
	v_cmp_ne_u32_e32 vcc_lo, 0, v20
	v_cmp_ne_u32_e64 s1, 0, v10
	v_lshrrev_b32_e32 v10, 8, v11
	v_and_b32_e32 v21, 7, v19
	v_cndmask_b32_e64 v20, 0, 1, vcc_lo
	v_cmp_gt_i32_e32 vcc_lo, 31, v24
	v_lshrrev_b32_e32 v19, 2, v19
	v_cndmask_b32_e64 v3, 0, 1, s1
	v_cmp_eq_u32_e64 s0, 3, v21
	v_mul_f64 v[16:17], v[16:17], s[2:3]
	v_cndmask_b32_e32 v18, 0x7c00, v18, vcc_lo
	v_cmp_lt_i32_e32 vcc_lo, 5, v21
	s_waitcnt lgkmcnt(0)
	v_lshrrev_b32_e32 v22, 16, v4
	v_and_or_b32 v23, 0xffe, v10, v3
	v_bfe_u32 v21, v11, 20, 11
	v_lshl_or_b32 v20, v20, 9, 0x7c00
	s_or_b32 vcc_lo, s0, vcc_lo
	v_mul_f16_sdwa v10, v57, v22 dst_sel:DWORD dst_unused:UNUSED_PAD src0_sel:WORD_1 src1_sel:DWORD
	v_add_co_ci_u32_e32 v19, vcc_lo, 0, v19, vcc_lo
	v_cmp_ne_u32_e32 vcc_lo, 0, v14
	v_sub_nc_u32_e32 v3, 0x3f1, v21
	v_fmac_f16_e32 v10, v57, v4
	v_or_b32_e32 v25, 0x1000, v23
	v_mul_f16_sdwa v4, v57, v4 dst_sel:DWORD dst_unused:UNUSED_PAD src0_sel:WORD_1 src1_sel:DWORD
	v_cndmask_b32_e64 v14, 0, 1, vcc_lo
	v_cmp_eq_u32_e32 vcc_lo, 0x40f, v24
	v_cvt_f32_f16_e32 v10, v10
	v_med3_i32 v3, v3, 0, 13
	v_add_nc_u32_e32 v21, 0xfffffc10, v21
	v_lshl_or_b32 v14, v14, 9, 0x7c00
	v_cndmask_b32_e32 v20, v18, v20, vcc_lo
	v_cmp_gt_i32_e32 vcc_lo, 31, v7
	v_lshrrev_b32_e32 v24, v3, v25
	v_fma_f16 v4, v57, v22, -v4
	v_lshrrev_b32_e32 v11, 16, v11
	v_cndmask_b32_e32 v26, 0x7c00, v19, vcc_lo
	v_cvt_f64_f32_e32 v[18:19], v10
	v_and_or_b32 v10, 0x1ff, v17, v16
	v_cmp_eq_u32_e32 vcc_lo, 0x40f, v7
	v_lshlrev_b32_e32 v3, v3, v24
	v_bfe_u32 v16, v17, 20, 11
	v_cvt_f32_f16_e32 v22, v4
	v_cndmask_b32_e32 v7, v26, v14, vcc_lo
	v_cmp_ne_u32_e32 vcc_lo, 0, v10
	v_lshrrev_b32_e32 v14, 16, v15
	v_and_or_b32 v15, 0x8000, v9, v20
	v_lshrrev_b32_e32 v10, 8, v17
	v_cndmask_b32_e64 v9, 0, 1, vcc_lo
	v_cmp_ne_u32_e32 vcc_lo, v3, v25
	v_and_or_b32 v7, 0x8000, v14, v7
	v_lshl_or_b32 v25, v21, 12, v23
	v_and_b32_e32 v15, 0xffff, v15
	v_and_or_b32 v20, 0xffe, v10, v9
	v_cndmask_b32_e64 v3, 0, 1, vcc_lo
	v_sub_nc_u32_e32 v9, 0x3f1, v16
	v_cmp_gt_i32_e32 vcc_lo, 1, v21
	v_add_nc_u32_e32 v16, 0xfffffc10, v16
	v_or_b32_e32 v3, v24, v3
	v_or_b32_e32 v24, 0x1000, v20
	v_med3_i32 v14, v9, 0, 13
	v_mul_f64 v[9:10], v[18:19], s[2:3]
	v_cndmask_b32_e32 v19, v25, v3, vcc_lo
	v_add_co_u32 v3, vcc_lo, v12, s5
	v_lshrrev_b32_e32 v18, v14, v24
	v_lshl_or_b32 v25, v7, 16, v15
	v_add_co_ci_u32_e32 v4, vcc_lo, s4, v13, vcc_lo
	v_cvt_f64_f32_e32 v[12:13], v22
	v_lshlrev_b32_e32 v7, v14, v18
	v_and_b32_e32 v26, 7, v19
	v_add_co_u32 v14, vcc_lo, v3, s5
	v_add_co_ci_u32_e32 v15, vcc_lo, s4, v4, vcc_lo
	v_cmp_ne_u32_e64 s0, v7, v24
	v_cmp_lt_i32_e32 vcc_lo, 5, v26
	v_lshrrev_b32_e32 v19, 2, v19
	global_store_dword v[3:4], v1, off
	global_store_dword v[14:15], v25, off
	v_cndmask_b32_e64 v7, 0, 1, s0
	v_cmp_eq_u32_e64 s0, 3, v26
	v_and_or_b32 v9, 0x1ff, v10, v9
	v_lshrrev_b32_e32 v22, 8, v10
	v_bfe_u32 v24, v10, 20, 11
	v_or_b32_e32 v7, v18, v7
	s_or_b32 vcc_lo, s0, vcc_lo
	v_lshl_or_b32 v18, v16, 12, v20
	v_add_co_ci_u32_e32 v19, vcc_lo, 0, v19, vcc_lo
	v_cmp_ne_u32_e64 s1, 0, v9
	v_cmp_gt_i32_e32 vcc_lo, 1, v16
	v_mul_f64 v[12:13], v[12:13], s[2:3]
	v_cndmask_b32_e64 v9, 0, 1, s1
	v_cndmask_b32_e32 v7, v18, v7, vcc_lo
	v_cmp_ne_u32_e32 vcc_lo, 0, v23
	v_sub_nc_u32_e32 v18, 0x3f1, v24
	v_cmp_eq_u32_e64 s1, 0x40f, v21
	v_and_or_b32 v9, 0xffe, v22, v9
	v_and_b32_e32 v23, 7, v7
	v_cndmask_b32_e64 v22, 0, 1, vcc_lo
	v_cmp_gt_i32_e32 vcc_lo, 31, v21
	v_lshrrev_b32_e32 v1, 2, v7
	v_or_b32_e32 v26, 0x1000, v9
	v_cmp_eq_u32_e64 s0, 3, v23
	v_med3_i32 v18, v18, 0, 13
	v_cndmask_b32_e32 v19, 0x7c00, v19, vcc_lo
	v_cmp_lt_i32_e32 vcc_lo, 5, v23
	v_lshl_or_b32 v22, v22, 9, 0x7c00
	v_lshrrev_b32_e32 v23, v18, v26
	s_or_b32 vcc_lo, s0, vcc_lo
	v_and_or_b32 v4, 0x1ff, v13, v12
	v_add_co_ci_u32_e32 v1, vcc_lo, 0, v1, vcc_lo
	v_cmp_ne_u32_e32 vcc_lo, 0, v20
	v_lshlrev_b32_e32 v3, v18, v23
	v_lshrrev_b32_e32 v18, 16, v6
	v_cndmask_b32_e64 v7, v19, v22, s1
	v_lshrrev_b32_e32 v21, 8, v13
	v_cndmask_b32_e64 v12, 0, 1, vcc_lo
	v_cmp_gt_i32_e32 vcc_lo, 31, v16
	v_mul_f16_sdwa v19, v56, v18 dst_sel:DWORD dst_unused:UNUSED_PAD src0_sel:WORD_1 src1_sel:DWORD
	v_add_nc_u32_e32 v20, 0xfffffc10, v24
	v_bfe_u32 v22, v13, 20, 11
	v_lshl_or_b32 v12, v12, 9, 0x7c00
	v_cndmask_b32_e32 v1, 0x7c00, v1, vcc_lo
	v_cmp_ne_u32_e32 vcc_lo, v3, v26
	v_fmac_f16_e32 v19, v56, v6
	v_lshl_or_b32 v24, v20, 12, v9
	v_mul_f16_sdwa v6, v56, v6 dst_sel:DWORD dst_unused:UNUSED_PAD src0_sel:WORD_1 src1_sel:DWORD
	v_cndmask_b32_e64 v3, 0, 1, vcc_lo
	v_cmp_ne_u32_e32 vcc_lo, 0, v4
	v_cvt_f32_f16_e32 v19, v19
	v_fma_f16 v6, v56, v18, -v6
	v_and_or_b32 v18, 0x8000, v11, v7
	v_or_b32_e32 v23, v23, v3
	v_cndmask_b32_e64 v4, 0, 1, vcc_lo
	v_cmp_gt_i32_e32 vcc_lo, 1, v20
	v_cvt_f32_f16_e32 v6, v6
	v_and_b32_e32 v18, 0xffff, v18
	v_and_or_b32 v21, 0xffe, v21, v4
	v_cvt_f64_f32_e32 v[3:4], v19
	v_sub_nc_u32_e32 v19, 0x3f1, v22
	v_cndmask_b32_e32 v23, v24, v23, vcc_lo
	v_cmp_eq_u32_e32 vcc_lo, 0x40f, v16
	v_or_b32_e32 v24, 0x1000, v21
	v_lshrrev_b32_e32 v16, 16, v17
	v_med3_i32 v19, v19, 0, 13
	v_cvt_f64_f32_e32 v[6:7], v6
	v_cndmask_b32_e32 v1, v1, v12, vcc_lo
	v_and_b32_e32 v12, 7, v23
	v_lshrrev_b32_e32 v17, v19, v24
	v_and_or_b32 v1, 0x8000, v16, v1
	v_cmp_lt_i32_e32 vcc_lo, 5, v12
	v_cmp_eq_u32_e64 s0, 3, v12
	v_lshlrev_b32_e32 v19, v19, v17
	v_lshrrev_b32_e32 v16, 2, v23
	v_lshl_or_b32 v1, v1, 16, v18
	s_or_b32 vcc_lo, s0, vcc_lo
	v_cmp_ne_u32_e64 s1, v19, v24
	v_mul_f64 v[11:12], v[3:4], s[2:3]
	v_add_co_ci_u32_e32 v16, vcc_lo, 0, v16, vcc_lo
	v_add_nc_u32_e32 v19, 0xfffffc10, v22
	v_cndmask_b32_e64 v3, 0, 1, s1
	v_cmp_ne_u32_e32 vcc_lo, 0, v9
	v_mul_f64 v[6:7], v[6:7], s[2:3]
	v_lshl_or_b32 v22, v19, 12, v21
	v_or_b32_e32 v17, v17, v3
	v_cndmask_b32_e64 v9, 0, 1, vcc_lo
	v_cmp_gt_i32_e32 vcc_lo, 1, v19
	ds_read2st64_b32 v[3:4], v48 offset0:24 offset1:26
	v_lshl_or_b32 v9, v9, 9, 0x7c00
	v_cndmask_b32_e32 v17, v22, v17, vcc_lo
	v_cmp_gt_i32_e32 vcc_lo, 31, v20
	v_and_b32_e32 v18, 7, v17
	v_and_or_b32 v11, 0x1ff, v12, v11
	v_cndmask_b32_e32 v16, 0x7c00, v16, vcc_lo
	v_cmp_eq_u32_e32 vcc_lo, 0x40f, v20
	v_lshrrev_b32_e32 v17, 2, v17
	v_lshrrev_b32_e32 v20, 16, v10
	v_cmp_ne_u32_e64 s0, 0, v11
	v_lshrrev_b32_e32 v10, 8, v12
	v_cndmask_b32_e32 v16, v16, v9, vcc_lo
	v_cmp_lt_i32_e32 vcc_lo, 5, v18
	v_bfe_u32 v11, v12, 20, 11
	v_cndmask_b32_e64 v9, 0, 1, s0
	v_cmp_eq_u32_e64 s0, 3, v18
	s_waitcnt lgkmcnt(0)
	v_lshrrev_b32_e32 v22, 16, v3
	v_and_or_b32 v6, 0x1ff, v7, v6
	v_lshrrev_b32_e32 v26, 8, v7
	v_and_or_b32 v18, 0xffe, v10, v9
	s_or_b32 vcc_lo, s0, vcc_lo
	v_sub_nc_u32_e32 v9, 0x3f1, v11
	v_add_co_ci_u32_e32 v17, vcc_lo, 0, v17, vcc_lo
	v_cmp_ne_u32_e32 vcc_lo, 0, v21
	v_or_b32_e32 v23, 0x1000, v18
	v_med3_i32 v9, v9, 0, 13
	v_mul_f16_sdwa v10, v55, v22 dst_sel:DWORD dst_unused:UNUSED_PAD src0_sel:WORD_1 src1_sel:DWORD
	v_bfe_u32 v27, v7, 20, 11
	v_cndmask_b32_e64 v21, 0, 1, vcc_lo
	v_cmp_gt_i32_e32 vcc_lo, 31, v19
	v_lshrrev_b32_e32 v24, v9, v23
	v_fmac_f16_e32 v10, v55, v3
	v_and_or_b32 v20, 0x8000, v20, v16
	v_lshl_or_b32 v21, v21, 9, 0x7c00
	v_cndmask_b32_e32 v17, 0x7c00, v17, vcc_lo
	v_cmp_ne_u32_e32 vcc_lo, 0, v6
	v_lshlrev_b32_e32 v25, v9, v24
	v_cvt_f32_f16_e32 v10, v10
	v_sub_nc_u32_e32 v16, 0x3f1, v27
	v_mul_f16_sdwa v3, v55, v3 dst_sel:DWORD dst_unused:UNUSED_PAD src0_sel:WORD_1 src1_sel:DWORD
	v_cndmask_b32_e64 v6, 0, 1, vcc_lo
	v_cmp_eq_u32_e32 vcc_lo, 0x40f, v19
	v_cvt_f64_f32_e32 v[9:10], v10
	v_add_nc_u32_e32 v11, 0xfffffc10, v11
	v_fma_f16 v3, v55, v22, -v3
	v_and_or_b32 v6, 0xffe, v26, v6
	v_cndmask_b32_e32 v19, v17, v21, vcc_lo
	v_cmp_ne_u32_e32 vcc_lo, v25, v23
	v_med3_i32 v22, v16, 0, 13
	v_lshrrev_b32_e32 v23, 16, v13
	v_or_b32_e32 v21, 0x1000, v6
	v_lshl_or_b32 v16, v11, 12, v18
	v_cndmask_b32_e64 v17, 0, 1, vcc_lo
	v_cvt_f32_f16_e32 v3, v3
	v_cmp_gt_i32_e32 vcc_lo, 1, v11
	v_lshrrev_b32_e32 v12, 16, v12
	v_or_b32_e32 v13, v24, v17
	v_lshrrev_b32_e32 v24, v22, v21
	v_cndmask_b32_e32 v25, v16, v13, vcc_lo
	v_cvt_f64_f32_e32 v[16:17], v3
	v_lshlrev_b32_e32 v3, v22, v24
	v_add_co_u32 v13, vcc_lo, v14, s5
	v_add_co_ci_u32_e32 v14, vcc_lo, s4, v15, vcc_lo
	v_and_or_b32 v15, 0x8000, v23, v19
	v_and_b32_e32 v19, 0xffff, v20
	v_and_b32_e32 v20, 7, v25
	v_cmp_ne_u32_e32 vcc_lo, v3, v21
	v_mul_f64 v[9:10], v[9:10], s[2:3]
	global_store_dword v[13:14], v1, off
	v_lshl_or_b32 v19, v15, 16, v19
	v_cmp_eq_u32_e64 s0, 3, v20
	v_cndmask_b32_e64 v1, 0, 1, vcc_lo
	v_cmp_lt_i32_e32 vcc_lo, 5, v20
	v_lshrrev_b32_e32 v15, 2, v25
	v_add_nc_u32_e32 v3, 0xfffffc10, v27
	v_lshrrev_b32_e32 v23, 16, v8
	v_or_b32_e32 v1, v24, v1
	s_or_b32 vcc_lo, s0, vcc_lo
	v_add_co_ci_u32_e32 v21, vcc_lo, 0, v15, vcc_lo
	v_cmp_ne_u32_e32 vcc_lo, 0, v18
	v_lshl_or_b32 v20, v3, 12, v6
	v_mul_f64 v[15:16], v[16:17], s[2:3]
	v_cndmask_b32_e64 v18, 0, 1, vcc_lo
	v_add_co_u32 v13, vcc_lo, v13, s7
	v_add_co_ci_u32_e32 v14, vcc_lo, s6, v14, vcc_lo
	v_cmp_gt_i32_e32 vcc_lo, 1, v3
	v_and_or_b32 v9, 0x1ff, v10, v9
	v_lshl_or_b32 v18, v18, 9, 0x7c00
	global_store_dword v[13:14], v19, off
	v_cndmask_b32_e32 v1, v20, v1, vcc_lo
	v_cmp_gt_i32_e32 vcc_lo, 31, v11
	v_lshrrev_b32_e32 v20, 8, v10
	v_and_b32_e32 v22, 7, v1
	v_cndmask_b32_e32 v17, 0x7c00, v21, vcc_lo
	v_cmp_ne_u32_e32 vcc_lo, 0, v9
	v_bfe_u32 v21, v10, 20, 11
	v_lshrrev_b32_e32 v1, 2, v1
	v_cmp_eq_u32_e64 s0, 3, v22
	v_and_or_b32 v15, 0x1ff, v16, v15
	v_cndmask_b32_e64 v9, 0, 1, vcc_lo
	v_cmp_eq_u32_e32 vcc_lo, 0x40f, v11
	v_lshrrev_b32_e32 v24, 8, v16
	v_bfe_u32 v25, v16, 20, 11
	v_lshrrev_b32_e32 v10, 16, v10
	v_and_or_b32 v19, 0xffe, v20, v9
	v_cndmask_b32_e32 v11, v17, v18, vcc_lo
	v_cmp_lt_i32_e32 vcc_lo, 5, v22
	v_sub_nc_u32_e32 v9, 0x3f1, v21
	v_mul_f16_sdwa v17, v54, v23 dst_sel:DWORD dst_unused:UNUSED_PAD src0_sel:WORD_1 src1_sel:DWORD
	v_or_b32_e32 v20, 0x1000, v19
	v_and_or_b32 v11, 0x8000, v12, v11
	s_or_b32 vcc_lo, s0, vcc_lo
	v_med3_i32 v9, v9, 0, 13
	v_add_co_ci_u32_e32 v1, vcc_lo, 0, v1, vcc_lo
	v_cmp_ne_u32_e32 vcc_lo, 0, v6
	v_fmac_f16_e32 v17, v54, v8
	v_lshrrev_b32_e32 v22, v9, v20
	v_mul_f16_sdwa v8, v54, v8 dst_sel:DWORD dst_unused:UNUSED_PAD src0_sel:WORD_1 src1_sel:DWORD
	v_and_b32_e32 v11, 0xffff, v11
	v_cndmask_b32_e64 v6, 0, 1, vcc_lo
	v_cmp_ne_u32_e32 vcc_lo, 0, v15
	v_cvt_f32_f16_e32 v17, v17
	v_lshlrev_b32_e32 v9, v9, v22
	v_fma_f16 v8, v54, v23, -v8
	v_lshl_or_b32 v6, v6, 9, 0x7c00
	v_cndmask_b32_e64 v15, 0, 1, vcc_lo
	v_cmp_gt_i32_e32 vcc_lo, 31, v3
	v_cvt_f64_f32_e32 v[17:18], v17
	v_cvt_f32_f16_e32 v8, v8
	v_and_or_b32 v15, 0xffe, v24, v15
	v_cndmask_b32_e32 v1, 0x7c00, v1, vcc_lo
	v_cmp_ne_u32_e32 vcc_lo, v9, v20
	v_sub_nc_u32_e32 v24, 0x3f1, v25
	v_add_nc_u32_e32 v20, 0xfffffc10, v21
	v_or_b32_e32 v21, 0x1000, v15
	v_cndmask_b32_e64 v9, 0, 1, vcc_lo
	v_med3_i32 v24, v24, 0, 13
	v_cmp_gt_i32_e32 vcc_lo, 1, v20
	v_or_b32_e32 v9, v22, v9
	v_lshl_or_b32 v22, v20, 12, v19
	v_lshrrev_b32_e32 v26, v24, v21
	v_cndmask_b32_e32 v22, v22, v9, vcc_lo
	v_cmp_eq_u32_e32 vcc_lo, 0x40f, v3
	v_lshrrev_b32_e32 v3, 16, v7
	v_cvt_f64_f32_e32 v[8:9], v8
	v_and_b32_e32 v23, 7, v22
	v_cndmask_b32_e32 v1, v1, v6, vcc_lo
	v_mul_f64 v[6:7], v[17:18], s[2:3]
	v_lshlrev_b32_e32 v17, v24, v26
	v_lshrrev_b32_e32 v12, 2, v22
	v_cmp_lt_i32_e32 vcc_lo, 5, v23
	v_and_or_b32 v1, 0x8000, v3, v1
	v_cmp_ne_u32_e64 s0, v17, v21
	v_add_nc_u32_e32 v17, 0xfffffc10, v25
	v_lshrrev_b32_e32 v21, 16, v5
	v_lshl_or_b32 v1, v1, 16, v11
	v_cndmask_b32_e64 v3, 0, 1, s0
	v_cmp_eq_u32_e64 s0, 3, v23
	v_lshl_or_b32 v18, v17, 12, v15
	v_mul_f16_sdwa v24, v53, v21 dst_sel:DWORD dst_unused:UNUSED_PAD src0_sel:WORD_1 src1_sel:DWORD
	v_or_b32_e32 v3, v26, v3
	s_or_b32 vcc_lo, s0, vcc_lo
	v_mul_f64 v[8:9], v[8:9], s[2:3]
	v_add_co_ci_u32_e32 v12, vcc_lo, 0, v12, vcc_lo
	v_cmp_ne_u32_e32 vcc_lo, 0, v19
	v_and_or_b32 v6, 0x1ff, v7, v6
	v_lshrrev_b32_e32 v11, 8, v7
	v_bfe_u32 v22, v7, 20, 11
	v_fmac_f16_e32 v24, v53, v5
	v_cndmask_b32_e64 v19, 0, 1, vcc_lo
	v_cmp_gt_i32_e32 vcc_lo, 1, v17
	v_mul_f16_sdwa v5, v53, v5 dst_sel:DWORD dst_unused:UNUSED_PAD src0_sel:WORD_1 src1_sel:DWORD
	v_lshl_or_b32 v19, v19, 9, 0x7c00
	v_cndmask_b32_e32 v3, v18, v3, vcc_lo
	v_cmp_gt_i32_e32 vcc_lo, 31, v20
	v_fma_f16 v5, v53, v21, -v5
	v_and_b32_e32 v23, 7, v3
	v_cndmask_b32_e32 v18, 0x7c00, v12, vcc_lo
	v_cmp_ne_u32_e32 vcc_lo, 0, v6
	v_lshrrev_b32_e32 v3, 2, v3
	v_and_or_b32 v8, 0x1ff, v9, v8
	v_cmp_eq_u32_e64 s0, 3, v23
	v_cvt_f32_f16_e32 v5, v5
	v_cndmask_b32_e64 v6, 0, 1, vcc_lo
	v_and_or_b32 v25, 0xffe, v11, v6
	v_add_co_u32 v11, vcc_lo, v13, s5
	v_add_co_ci_u32_e32 v12, vcc_lo, s4, v14, vcc_lo
	v_cmp_eq_u32_e32 vcc_lo, 0x40f, v20
	v_sub_nc_u32_e32 v6, 0x3f1, v22
	v_or_b32_e32 v26, 0x1000, v25
	v_cvt_f32_f16_e32 v13, v24
	v_lshrrev_b32_e32 v20, 8, v9
	v_cndmask_b32_e32 v18, v18, v19, vcc_lo
	v_cmp_lt_i32_e32 vcc_lo, 5, v23
	v_med3_i32 v6, v6, 0, 13
	v_cvt_f64_f32_e32 v[13:14], v13
	v_bfe_u32 v23, v9, 20, 11
	v_add_nc_u32_e32 v22, 0xfffffc10, v22
	s_or_b32 vcc_lo, s0, vcc_lo
	v_lshrrev_b32_e32 v19, v6, v26
	v_add_co_ci_u32_e32 v3, vcc_lo, 0, v3, vcc_lo
	v_cmp_ne_u32_e32 vcc_lo, 0, v15
	global_store_dword v[11:12], v1, off
	v_lshlrev_b32_e32 v6, v6, v19
	v_add_nc_u32_e32 v1, 0xfffffc10, v23
	v_and_or_b32 v10, 0x8000, v10, v18
	v_cndmask_b32_e64 v15, 0, 1, vcc_lo
	v_cmp_ne_u32_e32 vcc_lo, 0, v8
	v_and_b32_e32 v10, 0xffff, v10
	v_lshl_or_b32 v15, v15, 9, 0x7c00
	v_cndmask_b32_e64 v8, 0, 1, vcc_lo
	v_cmp_gt_i32_e32 vcc_lo, 31, v17
	v_mul_f64 v[13:14], v[13:14], s[2:3]
	v_and_or_b32 v20, 0xffe, v20, v8
	v_cndmask_b32_e32 v3, 0x7c00, v3, vcc_lo
	v_cmp_ne_u32_e32 vcc_lo, v6, v26
	v_sub_nc_u32_e32 v8, 0x3f1, v23
	v_or_b32_e32 v24, 0x1000, v20
	v_lshl_or_b32 v18, v1, 12, v20
	v_cndmask_b32_e64 v6, 0, 1, vcc_lo
	v_cmp_gt_i32_e32 vcc_lo, 1, v22
	v_med3_i32 v8, v8, 0, 13
	v_or_b32_e32 v6, v19, v6
	v_lshl_or_b32 v19, v22, 12, v25
	v_lshrrev_b32_e32 v26, v8, v24
	v_cndmask_b32_e32 v6, v19, v6, vcc_lo
	v_cmp_eq_u32_e32 vcc_lo, 0x40f, v17
	v_lshlrev_b32_e32 v8, v8, v26
	v_and_or_b32 v13, 0x1ff, v14, v13
	v_bfe_u32 v21, v14, 20, 11
	v_and_b32_e32 v17, 7, v6
	v_cndmask_b32_e32 v3, v3, v15, vcc_lo
	v_lshrrev_b32_e32 v15, 16, v16
	v_cmp_ne_u32_e64 s0, v8, v24
	v_lshrrev_b32_e32 v8, 2, v6
	v_cmp_lt_i32_e32 vcc_lo, 5, v17
	v_and_or_b32 v3, 0x8000, v15, v3
	v_cvt_f64_f32_e32 v[15:16], v5
	v_cndmask_b32_e64 v5, 0, 1, s0
	v_cmp_eq_u32_e64 s0, 3, v17
	v_lshl_or_b32 v3, v3, 16, v10
	v_or_b32_e32 v17, v26, v5
	s_or_b32 vcc_lo, s0, vcc_lo
	ds_read2st64_b32 v[5:6], v48 offset0:16 offset1:18
	v_add_co_ci_u32_e32 v8, vcc_lo, 0, v8, vcc_lo
	v_cmp_ne_u32_e32 vcc_lo, 0, v25
	v_cndmask_b32_e64 v19, 0, 1, vcc_lo
	v_cmp_gt_i32_e32 vcc_lo, 1, v1
	v_lshl_or_b32 v19, v19, 9, 0x7c00
	v_mul_f64 v[15:16], v[15:16], s[2:3]
	v_cndmask_b32_e32 v17, v18, v17, vcc_lo
	v_cmp_ne_u32_e32 vcc_lo, 0, v13
	v_lshrrev_b32_e32 v18, 8, v14
	v_and_b32_e32 v23, 7, v17
	v_cndmask_b32_e64 v13, 0, 1, vcc_lo
	v_cmp_gt_i32_e32 vcc_lo, 31, v22
	s_waitcnt lgkmcnt(0)
	v_lshrrev_b32_e32 v10, 16, v5
	v_cmp_eq_u32_e64 s0, 3, v23
	v_and_or_b32 v13, 0xffe, v18, v13
	v_cndmask_b32_e32 v8, 0x7c00, v8, vcc_lo
	v_cmp_eq_u32_e32 vcc_lo, 0x40f, v22
	v_sub_nc_u32_e32 v18, 0x3f1, v21
	v_add_nc_u32_e32 v21, 0xfffffc10, v21
	v_or_b32_e32 v22, 0x1000, v13
	v_cndmask_b32_e32 v19, v8, v19, vcc_lo
	v_cmp_lt_i32_e32 vcc_lo, 5, v23
	v_lshrrev_b32_e32 v23, 16, v7
	v_lshrrev_b32_e32 v7, 2, v17
	v_med3_i32 v18, v18, 0, 13
	v_and_or_b32 v15, 0x1ff, v16, v15
	s_or_b32 vcc_lo, s0, vcc_lo
	v_mul_f16_sdwa v8, v52, v10 dst_sel:DWORD dst_unused:UNUSED_PAD src0_sel:WORD_1 src1_sel:DWORD
	v_add_co_ci_u32_e32 v24, vcc_lo, 0, v7, vcc_lo
	v_lshrrev_b32_e32 v17, v18, v22
	v_cmp_ne_u32_e32 vcc_lo, 0, v15
	v_fmac_f16_e32 v8, v52, v5
	v_lshrrev_b32_e32 v25, 8, v16
	v_bfe_u32 v26, v16, 20, 11
	v_lshlrev_b32_e32 v18, v18, v17
	v_cndmask_b32_e64 v15, 0, 1, vcc_lo
	v_cmp_ne_u32_e32 vcc_lo, 0, v20
	v_cvt_f32_f16_e32 v8, v8
	v_and_or_b32 v19, 0x8000, v23, v19
	v_mul_f16_sdwa v5, v52, v5 dst_sel:DWORD dst_unused:UNUSED_PAD src0_sel:WORD_1 src1_sel:DWORD
	v_and_or_b32 v15, 0xffe, v25, v15
	v_cndmask_b32_e64 v20, 0, 1, vcc_lo
	v_cmp_ne_u32_e32 vcc_lo, v18, v22
	v_cvt_f64_f32_e32 v[7:8], v8
	v_sub_nc_u32_e32 v22, 0x3f1, v26
	v_or_b32_e32 v25, 0x1000, v15
	v_lshl_or_b32 v20, v20, 9, 0x7c00
	v_cndmask_b32_e64 v18, 0, 1, vcc_lo
	v_cmp_gt_i32_e32 vcc_lo, 31, v1
	v_med3_i32 v22, v22, 0, 13
	v_fma_f16 v5, v52, v10, -v5
	v_lshrrev_b32_e32 v16, 16, v16
	v_or_b32_e32 v17, v17, v18
	v_cndmask_b32_e32 v24, 0x7c00, v24, vcc_lo
	v_lshl_or_b32 v18, v21, 12, v13
	v_cmp_gt_i32_e32 vcc_lo, 1, v21
	v_lshrrev_b32_e32 v23, v22, v25
	v_cvt_f32_f16_e32 v5, v5
	v_cndmask_b32_e32 v17, v18, v17, vcc_lo
	v_cmp_eq_u32_e32 vcc_lo, 0x40f, v1
	v_lshrrev_b32_e32 v18, 16, v9
	v_mul_f64 v[7:8], v[7:8], s[2:3]
	v_cndmask_b32_e32 v1, v24, v20, vcc_lo
	v_lshlrev_b32_e32 v20, v22, v23
	v_add_co_u32 v9, vcc_lo, v11, s5
	v_add_co_ci_u32_e32 v10, vcc_lo, s4, v12, vcc_lo
	v_and_b32_e32 v22, 7, v17
	v_cmp_ne_u32_e32 vcc_lo, v20, v25
	v_and_or_b32 v1, 0x8000, v18, v1
	v_cvt_f64_f32_e32 v[11:12], v5
	v_lshrrev_b32_e32 v5, 2, v17
	v_cmp_eq_u32_e64 s0, 3, v22
	v_cndmask_b32_e64 v18, 0, 1, vcc_lo
	v_cmp_lt_i32_e32 vcc_lo, 5, v22
	v_add_nc_u32_e32 v20, 0xfffffc10, v26
	global_store_dword v[9:10], v3, off
	v_or_b32_e32 v17, v23, v18
	s_or_b32 vcc_lo, s0, vcc_lo
	v_lshl_or_b32 v18, v20, 12, v15
	v_add_co_ci_u32_e32 v5, vcc_lo, 0, v5, vcc_lo
	v_cmp_ne_u32_e32 vcc_lo, 0, v13
	v_and_or_b32 v7, 0x1ff, v8, v7
	v_lshrrev_b32_e32 v22, 8, v8
	v_bfe_u32 v23, v8, 20, 11
	v_lshrrev_b32_e32 v8, 16, v8
	v_cndmask_b32_e64 v13, 0, 1, vcc_lo
	v_cmp_gt_i32_e32 vcc_lo, 1, v20
	v_mul_f64 v[11:12], v[11:12], s[2:3]
	v_lshl_or_b32 v13, v13, 9, 0x7c00
	v_cndmask_b32_e32 v17, v18, v17, vcc_lo
	v_cmp_gt_i32_e32 vcc_lo, 31, v21
	v_and_b32_e32 v18, 0xffff, v19
	v_and_b32_e32 v19, 7, v17
	v_cndmask_b32_e32 v5, 0x7c00, v5, vcc_lo
	v_cmp_ne_u32_e32 vcc_lo, 0, v7
	v_lshl_or_b32 v1, v1, 16, v18
	v_cmp_eq_u32_e64 s0, 3, v19
	v_cndmask_b32_e64 v7, 0, 1, vcc_lo
	v_cmp_eq_u32_e32 vcc_lo, 0x40f, v21
	v_lshrrev_b32_e32 v21, 16, v4
	v_and_or_b32 v7, 0xffe, v22, v7
	v_cndmask_b32_e32 v3, v5, v13, vcc_lo
	v_cmp_lt_i32_e32 vcc_lo, 5, v19
	v_lshrrev_b32_e32 v13, 2, v17
	v_sub_nc_u32_e32 v5, 0x3f1, v23
	v_mul_f16_sdwa v19, v51, v21 dst_sel:DWORD dst_unused:UNUSED_PAD src0_sel:WORD_1 src1_sel:DWORD
	v_or_b32_e32 v17, 0x1000, v7
	s_or_b32 vcc_lo, s0, vcc_lo
	v_lshrrev_b32_e32 v22, 16, v14
	v_add_co_ci_u32_e32 v13, vcc_lo, 0, v13, vcc_lo
	v_cmp_ne_u32_e32 vcc_lo, 0, v15
	v_med3_i32 v5, v5, 0, 13
	v_and_or_b32 v11, 0x1ff, v12, v11
	v_fmac_f16_e32 v19, v51, v4
	v_bfe_u32 v26, v12, 20, 11
	v_cndmask_b32_e64 v14, 0, 1, vcc_lo
	v_cmp_gt_i32_e32 vcc_lo, 31, v20
	v_lshrrev_b32_e32 v15, v5, v17
	v_cvt_f32_f16_e32 v19, v19
	v_and_or_b32 v3, 0x8000, v22, v3
	v_lshl_or_b32 v25, v14, 9, 0x7c00
	v_cndmask_b32_e32 v24, 0x7c00, v13, vcc_lo
	v_cmp_ne_u32_e32 vcc_lo, 0, v11
	v_lshlrev_b32_e32 v5, v5, v15
	v_cvt_f64_f32_e32 v[13:14], v19
	v_lshrrev_b32_e32 v19, 8, v12
	v_cndmask_b32_e64 v11, 0, 1, vcc_lo
	v_cmp_eq_u32_e32 vcc_lo, 0x40f, v20
	v_and_or_b32 v11, 0xffe, v19, v11
	v_cndmask_b32_e32 v20, v24, v25, vcc_lo
	v_cmp_ne_u32_e32 vcc_lo, v5, v17
	v_add_nc_u32_e32 v17, 0xfffffc10, v23
	v_sub_nc_u32_e32 v19, 0x3f1, v26
	v_or_b32_e32 v22, 0x1000, v11
	v_and_or_b32 v16, 0x8000, v16, v20
	v_cndmask_b32_e64 v5, 0, 1, vcc_lo
	v_cmp_gt_i32_e32 vcc_lo, 1, v17
	v_med3_i32 v19, v19, 0, 13
	v_mul_f16_sdwa v20, v51, v4 dst_sel:DWORD dst_unused:UNUSED_PAD src0_sel:WORD_1 src1_sel:DWORD
	v_and_b32_e32 v23, 0xffff, v3
	v_or_b32_e32 v5, v15, v5
	v_lshl_or_b32 v15, v17, 12, v7
	v_lshrrev_b32_e32 v18, v19, v22
	v_lshl_or_b32 v16, v16, 16, v23
	v_cndmask_b32_e32 v15, v15, v5, vcc_lo
	v_mul_f64 v[4:5], v[13:14], s[2:3]
	v_fma_f16 v14, v51, v21, -v20
	v_add_co_u32 v9, vcc_lo, v9, s5
	v_and_b32_e32 v13, 7, v15
	v_lshlrev_b32_e32 v3, v19, v18
	v_add_co_ci_u32_e32 v10, vcc_lo, s4, v10, vcc_lo
	v_cvt_f32_f16_e32 v14, v14
	v_cmp_lt_i32_e32 vcc_lo, 5, v13
	v_cmp_eq_u32_e64 s0, 3, v13
	v_lshrrev_b32_e32 v15, 2, v15
	v_cmp_ne_u32_e64 s1, v3, v22
	v_cvt_f64_f32_e32 v[13:14], v14
	v_add_nc_u32_e32 v19, 0xfffffc10, v26
	s_or_b32 vcc_lo, s0, vcc_lo
	global_store_dword v[9:10], v1, off
	v_add_co_ci_u32_e32 v15, vcc_lo, 0, v15, vcc_lo
	v_cndmask_b32_e64 v3, 0, 1, s1
	v_cmp_ne_u32_e32 vcc_lo, 0, v7
	v_lshl_or_b32 v20, v19, 12, v11
	v_and_or_b32 v21, 0x1ff, v5, v4
	v_lshrrev_b32_e32 v22, 8, v5
	v_or_b32_e32 v18, v18, v3
	v_cndmask_b32_e64 v7, 0, 1, vcc_lo
	v_cmp_gt_i32_e32 vcc_lo, 1, v19
	ds_read2st64_b32 v[3:4], v48 offset0:36 offset1:38
	v_bfe_u32 v23, v5, 20, 11
	v_lshrrev_b32_e32 v5, 16, v5
	v_lshl_or_b32 v7, v7, 9, 0x7c00
	v_cndmask_b32_e32 v18, v20, v18, vcc_lo
	v_cmp_gt_i32_e32 vcc_lo, 31, v17
	v_mul_f64 v[13:14], v[13:14], s[2:3]
	v_and_b32_e32 v20, 7, v18
	v_cndmask_b32_e32 v15, 0x7c00, v15, vcc_lo
	v_cmp_ne_u32_e32 vcc_lo, 0, v21
	v_lshrrev_b32_e32 v18, 2, v18
	v_cmp_eq_u32_e64 s0, 3, v20
	v_cndmask_b32_e64 v21, 0, 1, vcc_lo
	v_cmp_eq_u32_e32 vcc_lo, 0x40f, v17
	v_sub_nc_u32_e32 v17, 0x3f1, v23
	v_cndmask_b32_e32 v7, v15, v7, vcc_lo
	v_cmp_lt_i32_e32 vcc_lo, 5, v20
	v_and_or_b32 v15, 0xffe, v22, v21
	s_waitcnt lgkmcnt(0)
	v_lshrrev_b32_e32 v21, 16, v3
	v_med3_i32 v17, v17, 0, 13
	v_and_or_b32 v25, 0x8000, v8, v7
	s_or_b32 vcc_lo, s0, vcc_lo
	v_or_b32_e32 v20, 0x1000, v15
	v_add_co_ci_u32_e32 v18, vcc_lo, 0, v18, vcc_lo
	v_cmp_ne_u32_e32 vcc_lo, 0, v11
	v_mul_f16_sdwa v22, v50, v21 dst_sel:DWORD dst_unused:UNUSED_PAD src0_sel:WORD_1 src1_sel:DWORD
	v_and_or_b32 v13, 0x1ff, v14, v13
	v_lshrrev_b32_e32 v24, v17, v20
	v_cndmask_b32_e64 v11, 0, 1, vcc_lo
	v_cmp_gt_i32_e32 vcc_lo, 31, v19
	v_fmac_f16_e32 v22, v50, v3
	v_lshlrev_b32_e32 v17, v17, v24
	v_mul_f16_sdwa v3, v50, v3 dst_sel:DWORD dst_unused:UNUSED_PAD src0_sel:WORD_1 src1_sel:DWORD
	v_lshl_or_b32 v11, v11, 9, 0x7c00
	v_cndmask_b32_e32 v18, 0x7c00, v18, vcc_lo
	v_cmp_eq_u32_e32 vcc_lo, 0x40f, v19
	v_cvt_f32_f16_e32 v22, v22
	v_bfe_u32 v19, v14, 20, 11
	v_fma_f16 v1, v50, v21, -v3
	v_cndmask_b32_e32 v18, v18, v11, vcc_lo
	v_cmp_ne_u32_e32 vcc_lo, 0, v13
	v_lshrrev_b32_e32 v13, 8, v14
	v_cvt_f64_f32_e32 v[7:8], v22
	v_lshrrev_b32_e32 v22, 16, v12
	v_cvt_f32_f16_e32 v1, v1
	v_cndmask_b32_e64 v11, 0, 1, vcc_lo
	v_cmp_ne_u32_e32 vcc_lo, v17, v20
	v_add_nc_u32_e32 v20, 0xfffffc10, v23
	v_and_or_b32 v18, 0x8000, v22, v18
	v_and_b32_e32 v22, 0xffff, v25
	v_and_or_b32 v13, 0xffe, v13, v11
	v_sub_nc_u32_e32 v11, 0x3f1, v19
	v_cndmask_b32_e64 v17, 0, 1, vcc_lo
	v_lshl_or_b32 v23, v20, 12, v15
	v_lshl_or_b32 v18, v18, 16, v22
	v_med3_i32 v26, v11, 0, 13
	v_add_co_u32 v11, vcc_lo, v9, s7
	v_add_co_ci_u32_e32 v12, vcc_lo, s6, v10, vcc_lo
	v_or_b32_e32 v17, v24, v17
	v_cmp_gt_i32_e32 vcc_lo, 1, v20
	v_or_b32_e32 v24, 0x1000, v13
	v_mul_f64 v[7:8], v[7:8], s[2:3]
	global_store_dword v[11:12], v16, off
	v_cndmask_b32_e32 v17, v23, v17, vcc_lo
	v_lshrrev_b32_e32 v23, v26, v24
	v_and_b32_e32 v3, 7, v17
	v_lshlrev_b32_e32 v9, v26, v23
	v_cmp_lt_i32_e32 vcc_lo, 5, v3
	v_cmp_eq_u32_e64 s0, 3, v3
	v_lshrrev_b32_e32 v3, 2, v17
	v_cmp_ne_u32_e64 s1, v9, v24
	v_cvt_f64_f32_e32 v[9:10], v1
	v_add_nc_u32_e32 v1, 0xfffffc10, v19
	s_or_b32 vcc_lo, s0, vcc_lo
	v_add_co_ci_u32_e32 v3, vcc_lo, 0, v3, vcc_lo
	v_cmp_ne_u32_e32 vcc_lo, 0, v15
	v_cndmask_b32_e64 v16, 0, 1, s1
	v_lshl_or_b32 v17, v1, 12, v13
	v_and_or_b32 v7, 0x1ff, v8, v7
	v_bfe_u32 v19, v8, 20, 11
	v_cndmask_b32_e64 v15, 0, 1, vcc_lo
	v_add_co_u32 v11, vcc_lo, v11, s5
	v_add_co_ci_u32_e32 v12, vcc_lo, s4, v12, vcc_lo
	v_or_b32_e32 v16, v23, v16
	v_cmp_gt_i32_e32 vcc_lo, 1, v1
	v_lshl_or_b32 v15, v15, 9, 0x7c00
	v_cmp_eq_u32_e64 s1, 0x40f, v20
	v_sub_nc_u32_e32 v22, 0x3f1, v19
	v_add_nc_u32_e32 v19, 0xfffffc10, v19
	v_cndmask_b32_e32 v16, v17, v16, vcc_lo
	v_cmp_gt_i32_e32 vcc_lo, 31, v20
	v_lshrrev_b32_e32 v17, 8, v8
	v_mul_f64 v[9:10], v[9:10], s[2:3]
	v_med3_i32 v22, v22, 0, 13
	v_and_b32_e32 v21, 7, v16
	v_cndmask_b32_e32 v3, 0x7c00, v3, vcc_lo
	v_cmp_ne_u32_e32 vcc_lo, 0, v7
	global_store_dword v[11:12], v18, off
	v_cmp_eq_u32_e64 s0, 3, v21
	v_cndmask_b32_e64 v3, v3, v15, s1
	v_cndmask_b32_e64 v7, 0, 1, vcc_lo
	v_cmp_lt_i32_e32 vcc_lo, 5, v21
	v_lshrrev_b32_e32 v15, 2, v16
	v_and_or_b32 v3, 0x8000, v5, v3
	v_and_or_b32 v7, 0xffe, v17, v7
	v_lshrrev_b32_e32 v17, 16, v2
	s_or_b32 vcc_lo, s0, vcc_lo
	v_add_co_ci_u32_e32 v15, vcc_lo, 0, v15, vcc_lo
	v_or_b32_e32 v21, 0x1000, v7
	v_mul_f16_sdwa v23, v49, v17 dst_sel:DWORD dst_unused:UNUSED_PAD src0_sel:WORD_1 src1_sel:DWORD
	v_cmp_ne_u32_e32 vcc_lo, 0, v13
	v_and_or_b32 v9, 0x1ff, v10, v9
	v_bfe_u32 v24, v10, 20, 11
	v_lshrrev_b32_e32 v20, v22, v21
	v_fmac_f16_e32 v23, v49, v2
	v_cndmask_b32_e64 v13, 0, 1, vcc_lo
	v_cmp_gt_i32_e32 vcc_lo, 31, v1
	v_mul_f16_sdwa v2, v49, v2 dst_sel:DWORD dst_unused:UNUSED_PAD src0_sel:WORD_1 src1_sel:DWORD
	v_lshlrev_b32_e32 v22, v22, v20
	v_cvt_f32_f16_e32 v16, v23
	v_lshl_or_b32 v13, v13, 9, 0x7c00
	v_cndmask_b32_e32 v23, 0x7c00, v15, vcc_lo
	v_and_b32_e32 v3, 0xffff, v3
	v_cmp_ne_u32_e32 vcc_lo, v22, v21
	v_cvt_f64_f32_e32 v[15:16], v16
	v_lshrrev_b32_e32 v22, 8, v10
	v_fma_f16 v2, v49, v17, -v2
	v_add_nc_u32_e32 v17, 0xfffffc10, v24
	v_cndmask_b32_e64 v21, 0, 1, vcc_lo
	v_cmp_ne_u32_e32 vcc_lo, 0, v9
	v_or_b32_e32 v20, v20, v21
	v_cndmask_b32_e64 v9, 0, 1, vcc_lo
	v_cmp_eq_u32_e32 vcc_lo, 0x40f, v1
	v_lshl_or_b32 v21, v19, 12, v7
	v_and_or_b32 v9, 0xffe, v22, v9
	v_sub_nc_u32_e32 v22, 0x3f1, v24
	v_cndmask_b32_e32 v1, v23, v13, vcc_lo
	v_cmp_gt_i32_e32 vcc_lo, 1, v19
	v_lshrrev_b32_e32 v23, 16, v14
	v_med3_i32 v22, v22, 0, 13
	v_mul_f64 v[13:14], v[15:16], s[2:3]
	v_cndmask_b32_e32 v20, v21, v20, vcc_lo
	v_or_b32_e32 v21, 0x1000, v9
	v_and_or_b32 v1, 0x8000, v23, v1
	v_and_b32_e32 v5, 7, v20
	v_lshrrev_b32_e32 v15, v22, v21
	v_lshl_or_b32 v3, v1, 16, v3
	v_cvt_f32_f16_e32 v1, v2
	v_cmp_lt_i32_e32 vcc_lo, 5, v5
	v_lshlrev_b32_e32 v16, v22, v15
	v_cmp_eq_u32_e64 s0, 3, v5
	v_lshrrev_b32_e32 v5, 2, v20
	v_cvt_f64_f32_e32 v[1:2], v1
	v_lshrrev_b32_e32 v22, 16, v6
	v_cmp_ne_u32_e64 s1, v16, v21
	s_or_b32 vcc_lo, s0, vcc_lo
	v_add_co_ci_u32_e32 v5, vcc_lo, 0, v5, vcc_lo
	v_cndmask_b32_e64 v16, 0, 1, s1
	v_cmp_ne_u32_e32 vcc_lo, 0, v7
	v_and_or_b32 v13, 0x1ff, v14, v13
	v_bfe_u32 v20, v14, 20, 11
	v_mul_f16_sdwa v24, v47, v22 dst_sel:DWORD dst_unused:UNUSED_PAD src0_sel:WORD_1 src1_sel:DWORD
	v_or_b32_e32 v15, v15, v16
	v_lshl_or_b32 v16, v17, 12, v9
	v_cndmask_b32_e64 v7, 0, 1, vcc_lo
	v_cmp_gt_i32_e32 vcc_lo, 1, v17
	v_sub_nc_u32_e32 v23, 0x3f1, v20
	v_fmac_f16_e32 v24, v47, v6
	v_add_nc_u32_e32 v20, 0xfffffc10, v20
	v_lshl_or_b32 v7, v7, 9, 0x7c00
	v_cndmask_b32_e32 v18, v16, v15, vcc_lo
	v_cmp_ne_u32_e32 vcc_lo, 0, v13
	v_lshrrev_b32_e32 v15, 8, v14
	v_mul_f16_sdwa v6, v47, v6 dst_sel:DWORD dst_unused:UNUSED_PAD src0_sel:WORD_1 src1_sel:DWORD
	v_lshrrev_b32_e32 v14, 16, v14
	v_and_b32_e32 v21, 7, v18
	v_cndmask_b32_e64 v13, 0, 1, vcc_lo
	v_cmp_gt_i32_e32 vcc_lo, 31, v19
	v_fma_f16 v6, v47, v22, -v6
	v_cmp_eq_u32_e64 s0, 3, v21
	v_and_or_b32 v13, 0xffe, v15, v13
	v_cndmask_b32_e32 v5, 0x7c00, v5, vcc_lo
	v_cmp_lt_i32_e32 vcc_lo, 5, v21
	v_mul_f64 v[15:16], v[1:2], s[2:3]
	v_lshrrev_b32_e32 v2, 2, v18
	v_or_b32_e32 v25, 0x1000, v13
	v_med3_i32 v1, v23, 0, 13
	s_or_b32 vcc_lo, s0, vcc_lo
	v_cvt_f32_f16_e32 v21, v24
	v_add_co_ci_u32_e32 v23, vcc_lo, 0, v2, vcc_lo
	v_add_co_u32 v11, vcc_lo, v11, s5
	v_lshrrev_b32_e32 v18, v1, v25
	v_add_co_ci_u32_e32 v12, vcc_lo, s4, v12, vcc_lo
	v_cmp_ne_u32_e32 vcc_lo, 0, v9
	v_lshlrev_b32_e32 v24, v1, v18
	v_cvt_f64_f32_e32 v[1:2], v21
	v_lshrrev_b32_e32 v21, 16, v8
	v_cndmask_b32_e64 v9, 0, 1, vcc_lo
	v_cmp_eq_u32_e32 vcc_lo, 0x40f, v19
	global_store_dword v[11:12], v3, off
	v_and_or_b32 v15, 0x1ff, v16, v15
	v_lshl_or_b32 v9, v9, 9, 0x7c00
	v_cndmask_b32_e32 v5, v5, v7, vcc_lo
	v_cmp_gt_i32_e32 vcc_lo, 31, v17
	v_and_or_b32 v5, 0x8000, v21, v5
	v_cndmask_b32_e32 v7, 0x7c00, v23, vcc_lo
	v_cmp_ne_u32_e32 vcc_lo, v24, v25
	v_lshrrev_b32_e32 v21, 16, v0
	v_and_b32_e32 v5, 0xffff, v5
	v_cndmask_b32_e64 v19, 0, 1, vcc_lo
	v_cmp_eq_u32_e32 vcc_lo, 0x40f, v17
	v_mul_f16_sdwa v22, v46, v21 dst_sel:DWORD dst_unused:UNUSED_PAD src0_sel:WORD_1 src1_sel:DWORD
	v_or_b32_e32 v17, v18, v19
	v_cndmask_b32_e32 v9, v7, v9, vcc_lo
	v_mul_f64 v[7:8], v[1:2], s[2:3]
	v_cmp_ne_u32_e32 vcc_lo, 0, v15
	v_lshrrev_b32_e32 v18, 8, v16
	v_bfe_u32 v19, v16, 20, 11
	v_lshl_or_b32 v1, v20, 12, v13
	v_lshrrev_b32_e32 v2, 16, v10
	v_cndmask_b32_e64 v15, 0, 1, vcc_lo
	v_cmp_gt_i32_e32 vcc_lo, 1, v20
	v_sub_nc_u32_e32 v10, 0x3f1, v19
	v_add_nc_u32_e32 v19, 0xfffffc10, v19
	v_fmac_f16_e32 v22, v46, v0
	v_and_or_b32 v15, 0xffe, v18, v15
	v_cndmask_b32_e32 v17, v1, v17, vcc_lo
	v_and_or_b32 v1, 0x8000, v2, v9
	v_med3_i32 v2, v10, 0, 13
	v_lshrrev_b32_e32 v16, 16, v16
	v_or_b32_e32 v9, 0x1000, v15
	v_and_b32_e32 v10, 7, v17
	v_lshl_or_b32 v3, v1, 16, v5
	v_cvt_f32_f16_e32 v5, v6
	v_add_co_u32 v1, s1, v11, s5
	v_lshrrev_b32_e32 v18, v2, v9
	v_and_or_b32 v7, 0x1ff, v8, v7
	v_cmp_lt_i32_e32 vcc_lo, 5, v10
	v_cmp_eq_u32_e64 s0, 3, v10
	v_cvt_f64_f32_e32 v[5:6], v5
	v_lshlrev_b32_e32 v10, v2, v18
	v_add_co_ci_u32_e64 v2, s1, s4, v12, s1
	v_cmp_ne_u32_e64 s1, 0, v7
	v_lshrrev_b32_e32 v11, 2, v17
	v_lshrrev_b32_e32 v12, 8, v8
	v_bfe_u32 v17, v8, 20, 11
	s_or_b32 vcc_lo, s0, vcc_lo
	v_cndmask_b32_e64 v7, 0, 1, s1
	v_cmp_ne_u32_e64 s1, v10, v9
	v_add_co_ci_u32_e32 v11, vcc_lo, 0, v11, vcc_lo
	v_cmp_gt_i32_e32 vcc_lo, 1, v19
	v_and_or_b32 v7, 0xffe, v12, v7
	v_cndmask_b32_e64 v9, 0, 1, s1
	v_lshl_or_b32 v12, v19, 12, v15
	v_sub_nc_u32_e32 v10, 0x3f1, v17
	v_cmp_eq_u32_e64 s1, 0x40f, v20
	v_add_nc_u32_e32 v17, 0xfffffc10, v17
	v_or_b32_e32 v9, v18, v9
	v_or_b32_e32 v18, 0x1000, v7
	v_med3_i32 v10, v10, 0, 13
	v_mul_f64 v[5:6], v[5:6], s[2:3]
	v_mul_f16_sdwa v0, v46, v0 dst_sel:DWORD dst_unused:UNUSED_PAD src0_sel:WORD_1 src1_sel:DWORD
	v_cndmask_b32_e32 v9, v12, v9, vcc_lo
	v_cmp_ne_u32_e32 vcc_lo, 0, v13
	v_lshrrev_b32_e32 v13, v10, v18
	v_fma_f16 v0, v46, v21, -v0
	v_and_b32_e32 v23, 7, v9
	v_cndmask_b32_e64 v12, 0, 1, vcc_lo
	v_cmp_gt_i32_e32 vcc_lo, 31, v20
	v_lshlrev_b32_e32 v10, v10, v13
	v_lshrrev_b32_e32 v20, 2, v9
	v_cmp_eq_u32_e64 s0, 3, v23
	v_lshl_or_b32 v12, v12, 9, 0x7c00
	v_cndmask_b32_e32 v11, 0x7c00, v11, vcc_lo
	v_cmp_lt_i32_e32 vcc_lo, 5, v23
	v_cvt_f32_f16_e32 v0, v0
	v_cndmask_b32_e64 v11, v11, v12, s1
	v_cvt_f32_f16_e32 v12, v22
	v_cmp_ne_u32_e64 s1, v10, v18
	s_or_b32 vcc_lo, s0, vcc_lo
	v_and_or_b32 v5, 0x1ff, v6, v5
	v_and_or_b32 v11, 0x8000, v14, v11
	v_cvt_f64_f32_e32 v[9:10], v12
	v_add_co_ci_u32_e32 v12, vcc_lo, 0, v20, vcc_lo
	v_cndmask_b32_e64 v18, 0, 1, s1
	v_cmp_ne_u32_e32 vcc_lo, 0, v15
	v_bfe_u32 v20, v6, 20, 11
	v_and_b32_e32 v11, 0xffff, v11
	v_or_b32_e32 v13, v13, v18
	v_lshl_or_b32 v18, v17, 12, v7
	v_cndmask_b32_e64 v15, 0, 1, vcc_lo
	v_cmp_gt_i32_e32 vcc_lo, 1, v17
	v_lshl_or_b32 v15, v15, 9, 0x7c00
	v_cndmask_b32_e32 v13, v18, v13, vcc_lo
	v_cmp_ne_u32_e32 vcc_lo, 0, v5
	v_lshrrev_b32_e32 v18, 8, v6
	v_lshrrev_b32_e32 v6, 16, v6
	v_and_b32_e32 v22, 7, v13
	v_cndmask_b32_e64 v5, 0, 1, vcc_lo
	v_cmp_gt_i32_e32 vcc_lo, 31, v19
	v_mul_f64 v[9:10], v[9:10], s[2:3]
	v_lshrrev_b32_e32 v13, 2, v13
	v_cmp_eq_u32_e64 s0, 3, v22
	v_and_or_b32 v5, 0xffe, v18, v5
	v_cndmask_b32_e32 v12, 0x7c00, v12, vcc_lo
	v_sub_nc_u32_e32 v18, 0x3f1, v20
	v_cmp_eq_u32_e32 vcc_lo, 0x40f, v19
	v_med3_i32 v18, v18, 0, 13
	v_cndmask_b32_e32 v12, v12, v15, vcc_lo
	v_or_b32_e32 v15, 0x1000, v5
	v_cmp_lt_i32_e32 vcc_lo, 5, v22
	v_and_or_b32 v12, 0x8000, v16, v12
	v_lshrrev_b32_e32 v14, v18, v15
	s_or_b32 vcc_lo, s0, vcc_lo
	v_add_co_ci_u32_e32 v13, vcc_lo, 0, v13, vcc_lo
	v_lshlrev_b32_e32 v16, v18, v14
	v_cmp_ne_u32_e32 vcc_lo, 0, v7
	v_and_or_b32 v9, 0x1ff, v10, v9
	v_lshl_or_b32 v18, v12, 16, v11
	v_cvt_f64_f32_e32 v[11:12], v0
	v_lshrrev_b32_e32 v19, 8, v10
	v_cndmask_b32_e64 v7, 0, 1, vcc_lo
	v_cmp_ne_u32_e32 vcc_lo, v16, v15
	v_add_nc_u32_e32 v16, 0xfffffc10, v20
	v_bfe_u32 v20, v10, 20, 11
	v_lshrrev_b32_e32 v10, 16, v10
	v_lshl_or_b32 v7, v7, 9, 0x7c00
	v_cndmask_b32_e64 v15, 0, 1, vcc_lo
	v_cmp_gt_i32_e32 vcc_lo, 31, v17
	v_or_b32_e32 v14, v14, v15
	v_cndmask_b32_e32 v13, 0x7c00, v13, vcc_lo
	v_cmp_ne_u32_e32 vcc_lo, 0, v9
	v_lshrrev_b32_e32 v9, 16, v4
	v_lshl_or_b32 v15, v16, 12, v5
	v_cndmask_b32_e64 v0, 0, 1, vcc_lo
	v_cmp_gt_i32_e32 vcc_lo, 1, v16
	v_mul_f16_sdwa v21, v45, v9 dst_sel:DWORD dst_unused:UNUSED_PAD src0_sel:WORD_1 src1_sel:DWORD
	v_mul_f64 v[11:12], v[11:12], s[2:3]
	v_and_or_b32 v0, 0xffe, v19, v0
	v_sub_nc_u32_e32 v19, 0x3f1, v20
	v_cndmask_b32_e32 v15, v15, v14, vcc_lo
	v_fmac_f16_e32 v21, v45, v4
	v_cmp_eq_u32_e32 vcc_lo, 0x40f, v17
	v_or_b32_e32 v22, 0x1000, v0
	v_med3_i32 v19, v19, 0, 13
	v_and_b32_e32 v23, 7, v15
	v_cvt_f32_f16_e32 v14, v21
	v_cndmask_b32_e32 v17, v13, v7, vcc_lo
	v_lshrrev_b32_e32 v21, 16, v8
	v_lshrrev_b32_e32 v7, v19, v22
	v_cmp_lt_i32_e32 vcc_lo, 5, v23
	v_cmp_eq_u32_e64 s0, 3, v23
	v_cvt_f64_f32_e32 v[13:14], v14
	v_lshrrev_b32_e32 v8, 2, v15
	v_lshlrev_b32_e32 v15, v19, v7
	v_mul_f16_sdwa v4, v45, v4 dst_sel:DWORD dst_unused:UNUSED_PAD src0_sel:WORD_1 src1_sel:DWORD
	s_or_b32 vcc_lo, s0, vcc_lo
	v_and_or_b32 v17, 0x8000, v21, v17
	v_add_co_ci_u32_e32 v8, vcc_lo, 0, v8, vcc_lo
	v_cmp_ne_u32_e32 vcc_lo, v15, v22
	v_fma_f16 v4, v45, v9, -v4
	v_add_nc_u32_e32 v15, 0xfffffc10, v20
	v_and_or_b32 v11, 0x1ff, v12, v11
	v_and_b32_e32 v17, 0xffff, v17
	v_cndmask_b32_e64 v9, 0, 1, vcc_lo
	v_cmp_ne_u32_e32 vcc_lo, 0, v5
	v_cvt_f32_f16_e32 v4, v4
	v_lshl_or_b32 v20, v15, 12, v0
	v_or_b32_e32 v9, v7, v9
	v_cndmask_b32_e64 v19, 0, 1, vcc_lo
	v_cmp_gt_i32_e32 vcc_lo, 31, v16
	v_cvt_f64_f32_e32 v[4:5], v4
	v_lshl_or_b32 v19, v19, 9, 0x7c00
	v_cndmask_b32_e32 v22, 0x7c00, v8, vcc_lo
	v_mul_f64 v[7:8], v[13:14], s[2:3]
	v_add_co_u32 v13, vcc_lo, v1, s7
	v_add_co_ci_u32_e32 v14, vcc_lo, s6, v2, vcc_lo
	v_cmp_gt_i32_e32 vcc_lo, 1, v15
	v_cndmask_b32_e32 v9, v20, v9, vcc_lo
	v_cmp_eq_u32_e32 vcc_lo, 0x40f, v16
	v_bfe_u32 v20, v12, 20, 11
	v_cndmask_b32_e32 v16, v22, v19, vcc_lo
	v_cmp_ne_u32_e32 vcc_lo, 0, v11
	v_lshrrev_b32_e32 v19, 8, v12
	v_and_b32_e32 v22, 7, v9
	v_mul_f64 v[4:5], v[4:5], s[2:3]
	v_lshrrev_b32_e32 v9, 2, v9
	v_cndmask_b32_e64 v11, 0, 1, vcc_lo
	v_and_or_b32 v6, 0x8000, v6, v16
	v_cmp_lt_i32_e32 vcc_lo, 5, v22
	v_cmp_eq_u32_e64 s0, 3, v22
	v_and_or_b32 v7, 0x1ff, v8, v7
	v_and_or_b32 v11, 0xffe, v19, v11
	v_sub_nc_u32_e32 v19, 0x3f1, v20
	v_lshrrev_b32_e32 v22, 8, v8
	s_or_b32 vcc_lo, s0, vcc_lo
	v_bfe_u32 v23, v8, 20, 11
	v_or_b32_e32 v16, 0x1000, v11
	v_med3_i32 v19, v19, 0, 13
	v_add_co_ci_u32_e32 v9, vcc_lo, 0, v9, vcc_lo
	v_cmp_ne_u32_e32 vcc_lo, 0, v7
	v_lshrrev_b32_e32 v12, 16, v12
	v_lshrrev_b32_e32 v21, v19, v16
	v_lshrrev_b32_e32 v8, 16, v8
	v_cndmask_b32_e64 v7, 0, 1, vcc_lo
	v_cmp_ne_u32_e32 vcc_lo, 0, v0
	v_lshlrev_b32_e32 v19, v19, v21
	v_and_or_b32 v4, 0x1ff, v5, v4
	v_lshrrev_b32_e32 v24, 8, v5
	v_and_or_b32 v7, 0xffe, v22, v7
	v_cndmask_b32_e64 v0, 0, 1, vcc_lo
	v_cmp_ne_u32_e32 vcc_lo, v19, v16
	v_sub_nc_u32_e32 v22, 0x3f1, v23
	v_add_nc_u32_e32 v19, 0xfffffc10, v20
	v_or_b32_e32 v20, 0x1000, v7
	v_bfe_u32 v25, v5, 20, 11
	v_cndmask_b32_e64 v16, 0, 1, vcc_lo
	v_cmp_gt_i32_e32 vcc_lo, 31, v15
	v_med3_i32 v22, v22, 0, 13
	v_lshl_or_b32 v0, v0, 9, 0x7c00
	v_or_b32_e32 v16, v21, v16
	v_cndmask_b32_e32 v9, 0x7c00, v9, vcc_lo
	v_cmp_ne_u32_e32 vcc_lo, 0, v4
	v_lshl_or_b32 v21, v19, 12, v11
	v_lshrrev_b32_e32 v26, v22, v20
	v_cndmask_b32_e64 v4, 0, 1, vcc_lo
	v_cmp_gt_i32_e32 vcc_lo, 1, v19
	v_and_or_b32 v4, 0xffe, v24, v4
	v_sub_nc_u32_e32 v24, 0x3f1, v25
	v_cndmask_b32_e32 v16, v21, v16, vcc_lo
	v_lshlrev_b32_e32 v21, v22, v26
	v_cmp_eq_u32_e32 vcc_lo, 0x40f, v15
	v_or_b32_e32 v22, 0x1000, v4
	v_med3_i32 v24, v24, 0, 13
	v_add_nc_u32_e32 v15, 0xfffffc10, v23
	v_and_b32_e32 v27, 7, v16
	v_cndmask_b32_e32 v0, v9, v0, vcc_lo
	v_cmp_ne_u32_e32 vcc_lo, v21, v20
	v_lshrrev_b32_e32 v20, v24, v22
	v_lshl_or_b32 v21, v15, 12, v7
	v_cmp_gt_i32_e64 s1, 1, v15
	v_cmp_eq_u32_e64 s0, 3, v27
	v_cndmask_b32_e64 v9, 0, 1, vcc_lo
	v_lshlrev_b32_e32 v23, v24, v20
	v_cmp_lt_i32_e32 vcc_lo, 5, v27
	v_lshrrev_b32_e32 v16, 2, v16
	v_and_or_b32 v0, 0x8000, v10, v0
	v_or_b32_e32 v9, v26, v9
	s_or_b32 vcc_lo, s0, vcc_lo
	v_add_co_ci_u32_e32 v16, vcc_lo, 0, v16, vcc_lo
	v_cndmask_b32_e64 v9, v21, v9, s1
	v_cmp_ne_u32_e64 s1, v23, v22
	v_add_nc_u32_e32 v22, 0xfffffc10, v25
	v_cmp_ne_u32_e32 vcc_lo, 0, v11
	v_and_b32_e32 v0, 0xffff, v0
	v_and_b32_e32 v23, 7, v9
	v_cndmask_b32_e64 v21, 0, 1, s1
	v_cmp_gt_i32_e64 s0, 1, v22
	v_cndmask_b32_e64 v11, 0, 1, vcc_lo
	v_lshrrev_b32_e32 v9, 2, v9
	v_cmp_lt_i32_e32 vcc_lo, 5, v23
	v_or_b32_e32 v20, v20, v21
	v_lshl_or_b32 v21, v22, 12, v4
	v_cmp_gt_i32_e64 s1, 31, v19
	v_lshl_or_b32 v11, v11, 9, 0x7c00
	v_cndmask_b32_e64 v10, v21, v20, s0
	v_cmp_eq_u32_e64 s0, 3, v23
	v_cndmask_b32_e64 v16, 0x7c00, v16, s1
	v_cmp_eq_u32_e64 s1, 0x40f, v19
	v_and_b32_e32 v20, 7, v10
	s_or_b32 vcc_lo, s0, vcc_lo
	v_lshrrev_b32_e32 v10, 2, v10
	v_add_co_ci_u32_e32 v9, vcc_lo, 0, v9, vcc_lo
	v_cmp_ne_u32_e32 vcc_lo, 0, v7
	v_cmp_eq_u32_e64 s0, 3, v20
	v_cndmask_b32_e64 v11, v16, v11, s1
	v_cmp_gt_i32_e64 s1, 31, v15
	v_cndmask_b32_e64 v7, 0, 1, vcc_lo
	v_cmp_lt_i32_e32 vcc_lo, 5, v20
	v_cndmask_b32_e64 v9, 0x7c00, v9, s1
	v_lshl_or_b32 v7, v7, 9, 0x7c00
	s_or_b32 vcc_lo, s0, vcc_lo
	v_add_co_ci_u32_e32 v10, vcc_lo, 0, v10, vcc_lo
	v_cmp_ne_u32_e32 vcc_lo, 0, v4
	v_cndmask_b32_e64 v4, 0, 1, vcc_lo
	v_cmp_eq_u32_e32 vcc_lo, 0x40f, v15
	v_lshl_or_b32 v4, v4, 9, 0x7c00
	v_cndmask_b32_e32 v7, v9, v7, vcc_lo
	v_cmp_gt_i32_e32 vcc_lo, 31, v22
	v_and_or_b32 v7, 0x8000, v8, v7
	v_cndmask_b32_e32 v9, 0x7c00, v10, vcc_lo
	v_cmp_eq_u32_e32 vcc_lo, 0x40f, v22
	v_lshl_or_b32 v10, v6, 16, v17
	v_and_or_b32 v6, 0x8000, v12, v11
	v_cndmask_b32_e32 v8, v9, v4, vcc_lo
	v_lshrrev_b32_e32 v9, 16, v5
	v_add_co_u32 v4, vcc_lo, v13, s5
	v_add_co_ci_u32_e32 v5, vcc_lo, s4, v14, vcc_lo
	v_lshl_or_b32 v0, v6, 16, v0
	v_and_or_b32 v8, 0x8000, v9, v8
	v_and_b32_e32 v9, 0xffff, v7
	v_add_co_u32 v6, vcc_lo, v4, s5
	v_add_co_ci_u32_e32 v7, vcc_lo, s4, v5, vcc_lo
	v_lshl_or_b32 v11, v8, 16, v9
	v_add_co_u32 v8, vcc_lo, v6, s5
	v_add_co_ci_u32_e32 v9, vcc_lo, s4, v7, vcc_lo
	global_store_dword v[1:2], v3, off
	global_store_dword v[13:14], v18, off
	;; [unrolled: 1-line block ×5, first 2 shown]
.LBB0_2:
	s_endpgm
	.section	.rodata,"a",@progbits
	.p2align	6, 0x0
	.amdhsa_kernel bluestein_single_fwd_len2560_dim1_half_op_CI_CI
		.amdhsa_group_segment_fixed_size 10240
		.amdhsa_private_segment_fixed_size 0
		.amdhsa_kernarg_size 104
		.amdhsa_user_sgpr_count 6
		.amdhsa_user_sgpr_private_segment_buffer 1
		.amdhsa_user_sgpr_dispatch_ptr 0
		.amdhsa_user_sgpr_queue_ptr 0
		.amdhsa_user_sgpr_kernarg_segment_ptr 1
		.amdhsa_user_sgpr_dispatch_id 0
		.amdhsa_user_sgpr_flat_scratch_init 0
		.amdhsa_user_sgpr_private_segment_size 0
		.amdhsa_wavefront_size32 1
		.amdhsa_uses_dynamic_stack 0
		.amdhsa_system_sgpr_private_segment_wavefront_offset 0
		.amdhsa_system_sgpr_workgroup_id_x 1
		.amdhsa_system_sgpr_workgroup_id_y 0
		.amdhsa_system_sgpr_workgroup_id_z 0
		.amdhsa_system_sgpr_workgroup_info 0
		.amdhsa_system_vgpr_workitem_id 0
		.amdhsa_next_free_vgpr 155
		.amdhsa_next_free_sgpr 20
		.amdhsa_reserve_vcc 1
		.amdhsa_reserve_flat_scratch 0
		.amdhsa_float_round_mode_32 0
		.amdhsa_float_round_mode_16_64 0
		.amdhsa_float_denorm_mode_32 3
		.amdhsa_float_denorm_mode_16_64 3
		.amdhsa_dx10_clamp 1
		.amdhsa_ieee_mode 1
		.amdhsa_fp16_overflow 0
		.amdhsa_workgroup_processor_mode 1
		.amdhsa_memory_ordered 1
		.amdhsa_forward_progress 0
		.amdhsa_shared_vgpr_count 0
		.amdhsa_exception_fp_ieee_invalid_op 0
		.amdhsa_exception_fp_denorm_src 0
		.amdhsa_exception_fp_ieee_div_zero 0
		.amdhsa_exception_fp_ieee_overflow 0
		.amdhsa_exception_fp_ieee_underflow 0
		.amdhsa_exception_fp_ieee_inexact 0
		.amdhsa_exception_int_div_zero 0
	.end_amdhsa_kernel
	.text
.Lfunc_end0:
	.size	bluestein_single_fwd_len2560_dim1_half_op_CI_CI, .Lfunc_end0-bluestein_single_fwd_len2560_dim1_half_op_CI_CI
                                        ; -- End function
	.section	.AMDGPU.csdata,"",@progbits
; Kernel info:
; codeLenInByte = 29228
; NumSgprs: 22
; NumVgprs: 155
; ScratchSize: 0
; MemoryBound: 0
; FloatMode: 240
; IeeeMode: 1
; LDSByteSize: 10240 bytes/workgroup (compile time only)
; SGPRBlocks: 2
; VGPRBlocks: 19
; NumSGPRsForWavesPerEU: 22
; NumVGPRsForWavesPerEU: 155
; Occupancy: 6
; WaveLimiterHint : 1
; COMPUTE_PGM_RSRC2:SCRATCH_EN: 0
; COMPUTE_PGM_RSRC2:USER_SGPR: 6
; COMPUTE_PGM_RSRC2:TRAP_HANDLER: 0
; COMPUTE_PGM_RSRC2:TGID_X_EN: 1
; COMPUTE_PGM_RSRC2:TGID_Y_EN: 0
; COMPUTE_PGM_RSRC2:TGID_Z_EN: 0
; COMPUTE_PGM_RSRC2:TIDIG_COMP_CNT: 0
	.text
	.p2alignl 6, 3214868480
	.fill 48, 4, 3214868480
	.type	__hip_cuid_2582041533181691,@object ; @__hip_cuid_2582041533181691
	.section	.bss,"aw",@nobits
	.globl	__hip_cuid_2582041533181691
__hip_cuid_2582041533181691:
	.byte	0                               ; 0x0
	.size	__hip_cuid_2582041533181691, 1

	.ident	"AMD clang version 19.0.0git (https://github.com/RadeonOpenCompute/llvm-project roc-6.4.0 25133 c7fe45cf4b819c5991fe208aaa96edf142730f1d)"
	.section	".note.GNU-stack","",@progbits
	.addrsig
	.addrsig_sym __hip_cuid_2582041533181691
	.amdgpu_metadata
---
amdhsa.kernels:
  - .args:
      - .actual_access:  read_only
        .address_space:  global
        .offset:         0
        .size:           8
        .value_kind:     global_buffer
      - .actual_access:  read_only
        .address_space:  global
        .offset:         8
        .size:           8
        .value_kind:     global_buffer
      - .actual_access:  read_only
        .address_space:  global
        .offset:         16
        .size:           8
        .value_kind:     global_buffer
      - .actual_access:  read_only
        .address_space:  global
        .offset:         24
        .size:           8
        .value_kind:     global_buffer
      - .actual_access:  read_only
        .address_space:  global
        .offset:         32
        .size:           8
        .value_kind:     global_buffer
      - .offset:         40
        .size:           8
        .value_kind:     by_value
      - .address_space:  global
        .offset:         48
        .size:           8
        .value_kind:     global_buffer
      - .address_space:  global
        .offset:         56
        .size:           8
        .value_kind:     global_buffer
      - .address_space:  global
        .offset:         64
        .size:           8
        .value_kind:     global_buffer
      - .address_space:  global
        .offset:         72
        .size:           8
        .value_kind:     global_buffer
      - .offset:         80
        .size:           4
        .value_kind:     by_value
      - .address_space:  global
        .offset:         88
        .size:           8
        .value_kind:     global_buffer
      - .address_space:  global
        .offset:         96
        .size:           8
        .value_kind:     global_buffer
    .group_segment_fixed_size: 10240
    .kernarg_segment_align: 8
    .kernarg_segment_size: 104
    .language:       OpenCL C
    .language_version:
      - 2
      - 0
    .max_flat_workgroup_size: 128
    .name:           bluestein_single_fwd_len2560_dim1_half_op_CI_CI
    .private_segment_fixed_size: 0
    .sgpr_count:     22
    .sgpr_spill_count: 0
    .symbol:         bluestein_single_fwd_len2560_dim1_half_op_CI_CI.kd
    .uniform_work_group_size: 1
    .uses_dynamic_stack: false
    .vgpr_count:     155
    .vgpr_spill_count: 0
    .wavefront_size: 32
    .workgroup_processor_mode: 1
amdhsa.target:   amdgcn-amd-amdhsa--gfx1030
amdhsa.version:
  - 1
  - 2
...

	.end_amdgpu_metadata
